;; amdgpu-corpus repo=zjin-lcf/HeCBench kind=compiled arch=gfx1030 opt=O3
	.amdgcn_target "amdgcn-amd-amdhsa--gfx1030"
	.amdhsa_code_object_version 6
	.section	.text._Z6kalmanILi8EEvPKdiS1_S1_S1_S1_S1_bS1_iPdS2_S2_iiS2_bS2_,"axG",@progbits,_Z6kalmanILi8EEvPKdiS1_S1_S1_S1_S1_bS1_iPdS2_S2_iiS2_bS2_,comdat
	.protected	_Z6kalmanILi8EEvPKdiS1_S1_S1_S1_S1_bS1_iPdS2_S2_iiS2_bS2_ ; -- Begin function _Z6kalmanILi8EEvPKdiS1_S1_S1_S1_S1_bS1_iPdS2_S2_iiS2_bS2_
	.globl	_Z6kalmanILi8EEvPKdiS1_S1_S1_S1_S1_bS1_iPdS2_S2_iiS2_bS2_
	.p2align	8
	.type	_Z6kalmanILi8EEvPKdiS1_S1_S1_S1_S1_bS1_iPdS2_S2_iiS2_bS2_,@function
_Z6kalmanILi8EEvPKdiS1_S1_S1_S1_S1_bS1_iPdS2_S2_iiS2_bS2_: ; @_Z6kalmanILi8EEvPKdiS1_S1_S1_S1_S1_bS1_iPdS2_S2_iiS2_bS2_
; %bb.0:
	s_mov_b64 s[38:39], s[2:3]
	s_mov_b64 s[36:37], s[0:1]
	s_clause 0x1
	s_load_dword s0, s[4:5], 0x94
	s_load_dword s1, s[4:5], 0x48
	s_add_u32 s36, s36, s7
	s_addc_u32 s37, s37, 0
	s_waitcnt lgkmcnt(0)
	s_and_b32 s0, s0, 0xffff
	v_mad_u64_u32 v[2:3], null, s6, s0, v[0:1]
	s_mov_b32 s0, exec_lo
	v_cmpx_gt_i32_e64 s1, v2
	s_cbranch_execz .LBB0_51
; %bb.1:
	s_load_dwordx8 s[8:15], s[4:5], 0x10
	v_lshlrev_b32_e32 v0, 6, v2
	s_clause 0x1
	s_load_dwordx2 s[0:1], s[4:5], 0x30
	s_load_dwordx2 s[6:7], s[4:5], 0x68
	v_mov_b32_e32 v51, v2
	v_lshlrev_b32_e32 v2, 3, v2
	v_ashrrev_i32_e32 v1, 31, v0
	v_ashrrev_i32_e32 v3, 31, v2
	v_lshlrev_b64 v[0:1], 3, v[0:1]
	v_lshlrev_b64 v[14:15], 3, v[2:3]
	s_waitcnt lgkmcnt(0)
	v_add_co_u32 v4, vcc_lo, s12, v0
	v_add_co_ci_u32_e64 v5, null, s13, v1, vcc_lo
	v_add_co_u32 v6, vcc_lo, s8, v0
	v_add_co_ci_u32_e64 v7, null, s9, v1, vcc_lo
	global_load_dwordx4 v[8:11], v[4:5], off offset:48
	v_add_co_u32 v0, vcc_lo, s14, v0
	v_add_co_ci_u32_e64 v1, null, s15, v1, vcc_lo
	s_cmp_gt_i32 s6, 0
	s_waitcnt vmcnt(0)
	buffer_store_dword v8, off, s[36:39], 0 offset:2000 ; 4-byte Folded Spill
	buffer_store_dword v9, off, s[36:39], 0 offset:2004 ; 4-byte Folded Spill
	buffer_store_dword v10, off, s[36:39], 0 offset:2008 ; 4-byte Folded Spill
	buffer_store_dword v11, off, s[36:39], 0 offset:2012 ; 4-byte Folded Spill
	global_load_dwordx4 v[8:11], v[4:5], off offset:32
	s_cselect_b32 s2, -1, 0
	s_cmp_lt_i32 s6, 1
	s_waitcnt vmcnt(0)
	buffer_store_dword v8, off, s[36:39], 0 offset:2016 ; 4-byte Folded Spill
	buffer_store_dword v9, off, s[36:39], 0 offset:2020 ; 4-byte Folded Spill
	;; [unrolled: 1-line block ×4, first 2 shown]
	global_load_dwordx4 v[8:11], v[4:5], off offset:16
	s_waitcnt vmcnt(0)
	buffer_store_dword v8, off, s[36:39], 0 offset:2032 ; 4-byte Folded Spill
	buffer_store_dword v9, off, s[36:39], 0 offset:2036 ; 4-byte Folded Spill
	;; [unrolled: 1-line block ×4, first 2 shown]
	global_load_dwordx4 v[8:11], v[4:5], off
	s_waitcnt vmcnt(0)
	buffer_store_dword v8, off, s[36:39], 0 offset:2048 ; 4-byte Folded Spill
	buffer_store_dword v9, off, s[36:39], 0 offset:2052 ; 4-byte Folded Spill
	buffer_store_dword v10, off, s[36:39], 0 offset:2056 ; 4-byte Folded Spill
	buffer_store_dword v11, off, s[36:39], 0 offset:2060 ; 4-byte Folded Spill
	global_load_dwordx4 v[8:11], v[4:5], off offset:112
	s_waitcnt vmcnt(0)
	buffer_store_dword v8, off, s[36:39], 0 offset:2064 ; 4-byte Folded Spill
	buffer_store_dword v9, off, s[36:39], 0 offset:2068 ; 4-byte Folded Spill
	buffer_store_dword v10, off, s[36:39], 0 offset:2072 ; 4-byte Folded Spill
	buffer_store_dword v11, off, s[36:39], 0 offset:2076 ; 4-byte Folded Spill
	global_load_dwordx4 v[8:11], v[4:5], off offset:96
	;; [unrolled: 6-line block ×31, first 2 shown]
	s_waitcnt vmcnt(0)
	buffer_store_dword v2, off, s[36:39], 0 offset:176 ; 4-byte Folded Spill
	buffer_store_dword v3, off, s[36:39], 0 offset:180 ; 4-byte Folded Spill
	;; [unrolled: 1-line block ×4, first 2 shown]
	global_load_dwordx4 v[2:5], v[6:7], off
	s_waitcnt vmcnt(0)
	buffer_store_dword v2, off, s[36:39], 0 offset:640 ; 4-byte Folded Spill
	buffer_store_dword v3, off, s[36:39], 0 offset:644 ; 4-byte Folded Spill
	buffer_store_dword v4, off, s[36:39], 0 offset:648 ; 4-byte Folded Spill
	buffer_store_dword v5, off, s[36:39], 0 offset:652 ; 4-byte Folded Spill
	global_load_dwordx4 v[2:5], v[6:7], off offset:112
	s_waitcnt vmcnt(0)
	buffer_store_dword v2, off, s[36:39], 0 offset:384 ; 4-byte Folded Spill
	buffer_store_dword v3, off, s[36:39], 0 offset:388 ; 4-byte Folded Spill
	buffer_store_dword v4, off, s[36:39], 0 offset:392 ; 4-byte Folded Spill
	buffer_store_dword v5, off, s[36:39], 0 offset:396 ; 4-byte Folded Spill
	global_load_dwordx4 v[2:5], v[6:7], off offset:96
	;; [unrolled: 6-line block ×3, first 2 shown]
	s_waitcnt vmcnt(0)
	buffer_store_dword v2, off, s[36:39], 0 offset:704 ; 4-byte Folded Spill
	buffer_store_dword v3, off, s[36:39], 0 offset:708 ; 4-byte Folded Spill
	;; [unrolled: 1-line block ×4, first 2 shown]
	s_clause 0x1
	global_load_dwordx4 v[96:99], v[6:7], off offset:64
	global_load_dwordx4 v[2:5], v[6:7], off offset:176
	s_waitcnt vmcnt(0)
	buffer_store_dword v2, off, s[36:39], 0 offset:192 ; 4-byte Folded Spill
	buffer_store_dword v3, off, s[36:39], 0 offset:196 ; 4-byte Folded Spill
	buffer_store_dword v4, off, s[36:39], 0 offset:200 ; 4-byte Folded Spill
	buffer_store_dword v5, off, s[36:39], 0 offset:204 ; 4-byte Folded Spill
	global_load_dwordx4 v[2:5], v[6:7], off offset:160
	s_waitcnt vmcnt(0)
	buffer_store_dword v2, off, s[36:39], 0 offset:16 ; 4-byte Folded Spill
	buffer_store_dword v3, off, s[36:39], 0 offset:20 ; 4-byte Folded Spill
	buffer_store_dword v4, off, s[36:39], 0 offset:24 ; 4-byte Folded Spill
	buffer_store_dword v5, off, s[36:39], 0 offset:28 ; 4-byte Folded Spill
	;; [unrolled: 6-line block ×6, first 2 shown]
	global_load_dwordx4 v[2:5], v[6:7], off offset:208
	s_waitcnt vmcnt(0)
	buffer_store_dword v2, off, s[36:39], 0 ; 4-byte Folded Spill
	buffer_store_dword v3, off, s[36:39], 0 offset:4 ; 4-byte Folded Spill
	buffer_store_dword v4, off, s[36:39], 0 offset:8 ; 4-byte Folded Spill
	buffer_store_dword v5, off, s[36:39], 0 offset:12 ; 4-byte Folded Spill
	global_load_dwordx4 v[2:5], v[6:7], off offset:192
	s_waitcnt vmcnt(0)
	buffer_store_dword v2, off, s[36:39], 0 offset:64 ; 4-byte Folded Spill
	buffer_store_dword v3, off, s[36:39], 0 offset:68 ; 4-byte Folded Spill
	buffer_store_dword v4, off, s[36:39], 0 offset:72 ; 4-byte Folded Spill
	buffer_store_dword v5, off, s[36:39], 0 offset:76 ; 4-byte Folded Spill
	global_load_dwordx4 v[2:5], v[6:7], off offset:304
	s_waitcnt vmcnt(0)
	buffer_store_dword v2, off, s[36:39], 0 offset:128 ; 4-byte Folded Spill
	;; [unrolled: 6-line block ×10, first 2 shown]
	buffer_store_dword v3, off, s[36:39], 0 offset:724 ; 4-byte Folded Spill
	buffer_store_dword v4, off, s[36:39], 0 offset:728 ; 4-byte Folded Spill
	;; [unrolled: 1-line block ×3, first 2 shown]
	s_clause 0x1
	global_load_dwordx4 v[88:91], v[6:7], off offset:416
	global_load_dwordx4 v[2:5], v[6:7], off offset:400
	s_waitcnt vmcnt(0)
	buffer_store_dword v2, off, s[36:39], 0 offset:1024 ; 4-byte Folded Spill
	buffer_store_dword v3, off, s[36:39], 0 offset:1028 ; 4-byte Folded Spill
	;; [unrolled: 1-line block ×4, first 2 shown]
	global_load_dwordx4 v[2:5], v[6:7], off offset:384
	s_waitcnt vmcnt(0)
	buffer_store_dword v2, off, s[36:39], 0 offset:144 ; 4-byte Folded Spill
	buffer_store_dword v3, off, s[36:39], 0 offset:148 ; 4-byte Folded Spill
	;; [unrolled: 1-line block ×4, first 2 shown]
	s_clause 0x3
	global_load_dwordx4 v[23:26], v[6:7], off offset:496
	global_load_dwordx4 v[27:30], v[6:7], off offset:480
	;; [unrolled: 1-line block ×4, first 2 shown]
	s_waitcnt vmcnt(0)
	buffer_store_dword v2, off, s[36:39], 0 offset:336 ; 4-byte Folded Spill
	buffer_store_dword v3, off, s[36:39], 0 offset:340 ; 4-byte Folded Spill
	;; [unrolled: 1-line block ×4, first 2 shown]
	global_load_dwordx4 v[2:5], v[0:1], off offset:48
	s_waitcnt vmcnt(0)
	buffer_store_dword v2, off, s[36:39], 0 offset:800 ; 4-byte Folded Spill
	buffer_store_dword v3, off, s[36:39], 0 offset:804 ; 4-byte Folded Spill
	;; [unrolled: 1-line block ×4, first 2 shown]
	s_clause 0x1
	global_load_dwordx4 v[104:107], v[0:1], off offset:32
	global_load_dwordx4 v[2:5], v[0:1], off offset:16
	s_waitcnt vmcnt(0)
	buffer_store_dword v2, off, s[36:39], 0 offset:432 ; 4-byte Folded Spill
	buffer_store_dword v3, off, s[36:39], 0 offset:436 ; 4-byte Folded Spill
	;; [unrolled: 1-line block ×4, first 2 shown]
	global_load_dwordx4 v[2:5], v[0:1], off
	s_waitcnt vmcnt(0)
	buffer_store_dword v2, off, s[36:39], 0 offset:256 ; 4-byte Folded Spill
	buffer_store_dword v3, off, s[36:39], 0 offset:260 ; 4-byte Folded Spill
	;; [unrolled: 1-line block ×4, first 2 shown]
	global_load_dwordx4 v[2:5], v[0:1], off offset:112
	s_waitcnt vmcnt(0)
	buffer_store_dword v2, off, s[36:39], 0 offset:784 ; 4-byte Folded Spill
	buffer_store_dword v3, off, s[36:39], 0 offset:788 ; 4-byte Folded Spill
	;; [unrolled: 1-line block ×4, first 2 shown]
	s_clause 0x1
	global_load_dwordx4 v[100:103], v[0:1], off offset:96
	global_load_dwordx4 v[2:5], v[0:1], off offset:80
	s_waitcnt vmcnt(0)
	buffer_store_dword v2, off, s[36:39], 0 offset:416 ; 4-byte Folded Spill
	buffer_store_dword v3, off, s[36:39], 0 offset:420 ; 4-byte Folded Spill
	buffer_store_dword v4, off, s[36:39], 0 offset:424 ; 4-byte Folded Spill
	buffer_store_dword v5, off, s[36:39], 0 offset:428 ; 4-byte Folded Spill
	global_load_dwordx4 v[2:5], v[0:1], off offset:64
	s_waitcnt vmcnt(0)
	buffer_store_dword v2, off, s[36:39], 0 offset:448 ; 4-byte Folded Spill
	buffer_store_dword v3, off, s[36:39], 0 offset:452 ; 4-byte Folded Spill
	buffer_store_dword v4, off, s[36:39], 0 offset:456 ; 4-byte Folded Spill
	buffer_store_dword v5, off, s[36:39], 0 offset:460 ; 4-byte Folded Spill
	;; [unrolled: 6-line block ×3, first 2 shown]
	s_clause 0x5
	global_load_dwordx4 v[56:59], v[0:1], off offset:160
	global_load_dwordx4 v[60:63], v[0:1], off offset:144
	;; [unrolled: 1-line block ×6, first 2 shown]
	s_waitcnt vmcnt(0)
	buffer_store_dword v2, off, s[36:39], 0 offset:464 ; 4-byte Folded Spill
	buffer_store_dword v3, off, s[36:39], 0 offset:468 ; 4-byte Folded Spill
	;; [unrolled: 1-line block ×4, first 2 shown]
	s_clause 0x6
	global_load_dwordx4 v[64:67], v[0:1], off offset:192
	global_load_dwordx4 v[6:9], v[0:1], off offset:304
	;; [unrolled: 1-line block ×7, first 2 shown]
	s_waitcnt vmcnt(0)
	buffer_store_dword v2, off, s[36:39], 0 offset:592 ; 4-byte Folded Spill
	buffer_store_dword v3, off, s[36:39], 0 offset:596 ; 4-byte Folded Spill
	;; [unrolled: 1-line block ×4, first 2 shown]
	s_clause 0x3
	global_load_dwordx4 v[35:38], v[0:1], off offset:336
	global_load_dwordx4 v[43:46], v[0:1], off offset:320
	;; [unrolled: 1-line block ×4, first 2 shown]
	s_waitcnt vmcnt(0)
	buffer_store_dword v2, off, s[36:39], 0 offset:512 ; 4-byte Folded Spill
	buffer_store_dword v3, off, s[36:39], 0 offset:516 ; 4-byte Folded Spill
	buffer_store_dword v4, off, s[36:39], 0 offset:520 ; 4-byte Folded Spill
	buffer_store_dword v5, off, s[36:39], 0 offset:524 ; 4-byte Folded Spill
	s_clause 0x1
	global_load_dwordx4 v[68:71], v[0:1], off offset:400
	global_load_dwordx4 v[2:5], v[0:1], off offset:384
	s_waitcnt vmcnt(0)
	buffer_store_dword v2, off, s[36:39], 0 offset:560 ; 4-byte Folded Spill
	buffer_store_dword v3, off, s[36:39], 0 offset:564 ; 4-byte Folded Spill
	;; [unrolled: 1-line block ×4, first 2 shown]
	s_clause 0x1
	global_load_dwordx4 v[92:95], v[0:1], off offset:496
	global_load_dwordx4 v[2:5], v[0:1], off offset:480
	s_waitcnt vmcnt(0)
	buffer_store_dword v2, off, s[36:39], 0 offset:496 ; 4-byte Folded Spill
	buffer_store_dword v3, off, s[36:39], 0 offset:500 ; 4-byte Folded Spill
	buffer_store_dword v4, off, s[36:39], 0 offset:504 ; 4-byte Folded Spill
	buffer_store_dword v5, off, s[36:39], 0 offset:508 ; 4-byte Folded Spill
	global_load_dwordx4 v[2:5], v[0:1], off offset:464
	s_waitcnt vmcnt(0)
	buffer_store_dword v2, off, s[36:39], 0 offset:528 ; 4-byte Folded Spill
	buffer_store_dword v3, off, s[36:39], 0 offset:532 ; 4-byte Folded Spill
	buffer_store_dword v4, off, s[36:39], 0 offset:536 ; 4-byte Folded Spill
	buffer_store_dword v5, off, s[36:39], 0 offset:540 ; 4-byte Folded Spill
	;; [unrolled: 6-line block ×3, first 2 shown]
	v_mov_b32_e32 v0, 0
	v_mov_b32_e32 v1, 0
	buffer_store_dword v0, off, s[36:39], 0 offset:1224 ; 4-byte Folded Spill
	buffer_store_dword v1, off, s[36:39], 0 offset:1228 ; 4-byte Folded Spill
	v_mov_b32_e32 v0, 0
	v_mov_b32_e32 v1, 0
	buffer_store_dword v0, off, s[36:39], 0 offset:1232 ; 4-byte Folded Spill
	buffer_store_dword v1, off, s[36:39], 0 offset:1236 ; 4-byte Folded Spill
	s_cbranch_scc1 .LBB0_3
; %bb.2:
	v_add_co_u32 v0, vcc_lo, s10, v14
	v_add_co_ci_u32_e64 v1, null, s11, v15, vcc_lo
	global_load_dwordx2 v[0:1], v[0:1], off
	s_waitcnt vmcnt(0)
	buffer_store_dword v0, off, s[36:39], 0 offset:1232 ; 4-byte Folded Spill
	buffer_store_dword v1, off, s[36:39], 0 offset:1236 ; 4-byte Folded Spill
.LBB0_3:
	v_add_co_u32 v16, vcc_lo, s0, v14
	v_add_co_ci_u32_e64 v17, null, s1, v15, vcc_lo
	buffer_store_dword v35, off, s[36:39], 0 offset:736 ; 4-byte Folded Spill
	buffer_store_dword v36, off, s[36:39], 0 offset:740 ; 4-byte Folded Spill
	;; [unrolled: 1-line block ×12, first 2 shown]
	v_cndmask_b32_e64 v18, 0, 1, s2
	s_andn2_b32 vcc_lo, exec_lo, s2
	global_load_dwordx2 v[112:113], v[16:17], off
	s_cbranch_vccnz .LBB0_5
; %bb.4:
	v_add_co_u32 v2, vcc_lo, s10, v14
	v_add_co_ci_u32_e64 v3, null, s11, v15, vcc_lo
	global_load_dwordx2 v[0:1], v[2:3], off offset:8
	s_waitcnt vmcnt(0)
	buffer_store_dword v0, off, s[36:39], 0 offset:1224 ; 4-byte Folded Spill
	buffer_store_dword v1, off, s[36:39], 0 offset:1228 ; 4-byte Folded Spill
.LBB0_5:
	buffer_store_dword v39, off, s[36:39], 0 offset:752 ; 4-byte Folded Spill
	buffer_store_dword v40, off, s[36:39], 0 offset:756 ; 4-byte Folded Spill
	;; [unrolled: 1-line block ×4, first 2 shown]
	global_load_dwordx2 v[114:115], v[16:17], off offset:8
	v_mov_b32_e32 v0, 0
	v_mov_b32_e32 v1, 0
	v_cmp_ne_u32_e32 vcc_lo, 1, v18
	buffer_store_dword v0, off, s[36:39], 0 offset:1240 ; 4-byte Folded Spill
	buffer_store_dword v1, off, s[36:39], 0 offset:1244 ; 4-byte Folded Spill
	v_mov_b32_e32 v0, 0
	v_mov_b32_e32 v1, 0
	buffer_store_dword v0, off, s[36:39], 0 offset:1248 ; 4-byte Folded Spill
	buffer_store_dword v1, off, s[36:39], 0 offset:1252 ; 4-byte Folded Spill
	s_cbranch_vccnz .LBB0_7
; %bb.6:
	v_add_co_u32 v4, vcc_lo, s10, v14
	v_add_co_ci_u32_e64 v5, null, s11, v15, vcc_lo
	global_load_dwordx2 v[0:1], v[4:5], off offset:16
	s_waitcnt vmcnt(0)
	buffer_store_dword v0, off, s[36:39], 0 offset:1248 ; 4-byte Folded Spill
	buffer_store_dword v1, off, s[36:39], 0 offset:1252 ; 4-byte Folded Spill
.LBB0_7:
	global_load_dwordx2 v[116:117], v[16:17], off offset:16
	v_cmp_ne_u32_e32 vcc_lo, 1, v18
	s_cbranch_vccnz .LBB0_9
; %bb.8:
	v_add_co_u32 v6, vcc_lo, s10, v14
	v_add_co_ci_u32_e64 v7, null, s11, v15, vcc_lo
	global_load_dwordx2 v[0:1], v[6:7], off offset:24
	s_waitcnt vmcnt(0)
	buffer_store_dword v0, off, s[36:39], 0 offset:1240 ; 4-byte Folded Spill
	buffer_store_dword v1, off, s[36:39], 0 offset:1244 ; 4-byte Folded Spill
.LBB0_9:
	buffer_store_dword v43, off, s[36:39], 0 offset:768 ; 4-byte Folded Spill
	buffer_store_dword v44, off, s[36:39], 0 offset:772 ; 4-byte Folded Spill
	;; [unrolled: 1-line block ×4, first 2 shown]
	global_load_dwordx2 v[118:119], v[16:17], off offset:24
	v_mov_b32_e32 v0, 0
	v_mov_b32_e32 v1, 0
	v_cmp_ne_u32_e32 vcc_lo, 1, v18
	buffer_store_dword v0, off, s[36:39], 0 offset:1256 ; 4-byte Folded Spill
	buffer_store_dword v1, off, s[36:39], 0 offset:1260 ; 4-byte Folded Spill
	v_mov_b32_e32 v0, 0
	v_mov_b32_e32 v1, 0
	s_and_b32 vcc_lo, exec_lo, vcc_lo
	buffer_store_dword v0, off, s[36:39], 0 offset:1264 ; 4-byte Folded Spill
	buffer_store_dword v1, off, s[36:39], 0 offset:1268 ; 4-byte Folded Spill
	;; [unrolled: 1-line block ×6, first 2 shown]
	s_cbranch_vccnz .LBB0_11
; %bb.10:
	v_add_co_u32 v8, vcc_lo, s10, v14
	v_add_co_ci_u32_e64 v9, null, s11, v15, vcc_lo
	global_load_dwordx2 v[0:1], v[8:9], off offset:32
	s_waitcnt vmcnt(0)
	buffer_store_dword v0, off, s[36:39], 0 offset:1264 ; 4-byte Folded Spill
	buffer_store_dword v1, off, s[36:39], 0 offset:1268 ; 4-byte Folded Spill
	s_clause 0x3
	buffer_load_dword v96, off, s[36:39], 0 offset:624
	buffer_load_dword v97, off, s[36:39], 0 offset:628
	;; [unrolled: 1-line block ×4, first 2 shown]
.LBB0_11:
	global_load_dwordx2 v[120:121], v[16:17], off offset:32
	v_cmp_ne_u32_e32 vcc_lo, 1, v18
	v_mov_b32_e32 v83, v71
	v_mov_b32_e32 v82, v70
	;; [unrolled: 1-line block ×4, first 2 shown]
	s_cbranch_vccnz .LBB0_13
; %bb.12:
	v_add_co_u32 v10, vcc_lo, s10, v14
	v_add_co_ci_u32_e64 v11, null, s11, v15, vcc_lo
	global_load_dwordx2 v[0:1], v[10:11], off offset:40
	s_waitcnt vmcnt(0)
	buffer_store_dword v0, off, s[36:39], 0 offset:1256 ; 4-byte Folded Spill
	buffer_store_dword v1, off, s[36:39], 0 offset:1260 ; 4-byte Folded Spill
	s_clause 0x3
	buffer_load_dword v96, off, s[36:39], 0 offset:624
	buffer_load_dword v97, off, s[36:39], 0 offset:628
	;; [unrolled: 1-line block ×4, first 2 shown]
.LBB0_13:
	v_mov_b32_e32 v0, 0
	v_mov_b32_e32 v1, 0
	buffer_store_dword v47, off, s[36:39], 0 offset:848 ; 4-byte Folded Spill
	buffer_store_dword v48, off, s[36:39], 0 offset:852 ; 4-byte Folded Spill
	;; [unrolled: 1-line block ×4, first 2 shown]
	global_load_dwordx2 v[122:123], v[16:17], off offset:40
	v_cmp_ne_u32_e32 vcc_lo, 1, v18
	buffer_store_dword v0, off, s[36:39], 0 offset:1272 ; 4-byte Folded Spill
	buffer_store_dword v1, off, s[36:39], 0 offset:1276 ; 4-byte Folded Spill
	v_mov_b32_e32 v0, 0
	v_mov_b32_e32 v1, 0
	buffer_store_dword v0, off, s[36:39], 0 offset:1280 ; 4-byte Folded Spill
	buffer_store_dword v1, off, s[36:39], 0 offset:1284 ; 4-byte Folded Spill
	s_clause 0x3
	buffer_load_dword v0, off, s[36:39], 0 offset:688
	buffer_load_dword v1, off, s[36:39], 0 offset:692
	;; [unrolled: 1-line block ×4, first 2 shown]
	s_cbranch_vccnz .LBB0_15
; %bb.14:
	v_add_co_u32 v12, vcc_lo, s10, v14
	v_add_co_ci_u32_e64 v13, null, s11, v15, vcc_lo
	global_load_dwordx2 v[0:1], v[12:13], off offset:48
	s_waitcnt vmcnt(0)
	buffer_store_dword v0, off, s[36:39], 0 offset:1280 ; 4-byte Folded Spill
	buffer_store_dword v1, off, s[36:39], 0 offset:1284 ; 4-byte Folded Spill
.LBB0_15:
	global_load_dwordx2 v[124:125], v[16:17], off offset:48
	v_cmp_ne_u32_e32 vcc_lo, 1, v18
	s_cbranch_vccnz .LBB0_17
; %bb.16:
	v_add_co_u32 v14, vcc_lo, s10, v14
	v_add_co_ci_u32_e64 v15, null, s11, v15, vcc_lo
	global_load_dwordx2 v[0:1], v[14:15], off offset:56
	s_waitcnt vmcnt(0)
	buffer_store_dword v0, off, s[36:39], 0 offset:1272 ; 4-byte Folded Spill
	buffer_store_dword v1, off, s[36:39], 0 offset:1276 ; 4-byte Folded Spill
.LBB0_17:
	global_load_dwordx2 v[126:127], v[16:17], off offset:56
	s_load_dword s0, s[4:5], 0x38
	s_waitcnt vmcnt(3)
	v_mov_b32_e32 v2, v51
	v_mov_b32_e32 v0, 0
	;; [unrolled: 1-line block ×3, first 2 shown]
	buffer_store_dword v0, off, s[36:39], 0 offset:2512 ; 4-byte Folded Spill
	buffer_store_dword v1, off, s[36:39], 0 offset:2516 ; 4-byte Folded Spill
	s_waitcnt vmcnt(2)
	v_ashrrev_i32_e32 v3, 31, v2
	v_mov_b32_e32 v0, 0
	v_mov_b32_e32 v1, 0
	buffer_store_dword v0, off, s[36:39], 0 offset:1728 ; 4-byte Folded Spill
	buffer_store_dword v1, off, s[36:39], 0 offset:1732 ; 4-byte Folded Spill
	v_lshlrev_b64 v[3:4], 3, v[2:3]
	s_waitcnt lgkmcnt(0)
	s_bitcmp0_b32 s0, 0
	s_cbranch_scc1 .LBB0_19
; %bb.18:
	s_load_dwordx2 s[0:1], s[4:5], 0x40
	s_waitcnt lgkmcnt(0)
	v_add_co_u32 v16, vcc_lo, s0, v3
	v_add_co_ci_u32_e64 v17, null, s1, v4, vcc_lo
	global_load_dwordx2 v[0:1], v[16:17], off
	s_waitcnt vmcnt(0)
	buffer_store_dword v0, off, s[36:39], 0 offset:1728 ; 4-byte Folded Spill
	buffer_store_dword v1, off, s[36:39], 0 offset:1732 ; 4-byte Folded Spill
.LBB0_19:
	buffer_store_dword v60, off, s[36:39], 0 offset:864 ; 4-byte Folded Spill
	buffer_store_dword v61, off, s[36:39], 0 offset:868 ; 4-byte Folded Spill
	;; [unrolled: 1-line block ×8, first 2 shown]
	s_clause 0x2
	s_load_dword s28, s[4:5], 0x8
	s_load_dwordx2 s[8:9], s[4:5], 0x70
	s_load_dwordx2 s[10:11], s[4:5], 0x60
	v_mov_b32_e32 v60, v88
	v_mov_b32_e32 v61, v89
	;; [unrolled: 1-line block ×4, first 2 shown]
	buffer_store_dword v60, off, s[36:39], 0 offset:672 ; 4-byte Folded Spill
	buffer_store_dword v61, off, s[36:39], 0 offset:676 ; 4-byte Folded Spill
	;; [unrolled: 1-line block ×18, first 2 shown]
	s_waitcnt lgkmcnt(0)
	s_cmp_lt_i32 s28, 1
	s_cbranch_scc1 .LBB0_37
; %bb.20:
	v_mov_b32_e32 v0, 0
	v_mov_b32_e32 v1, 0
	buffer_store_dword v3, off, s[36:39], 0 offset:2528 ; 4-byte Folded Spill
	buffer_store_dword v4, off, s[36:39], 0 offset:2532 ; 4-byte Folded Spill
	s_clause 0x1
	s_load_dwordx4 s[0:3], s[4:5], 0x50
	s_load_dwordx2 s[12:13], s[4:5], 0x0
	v_mul_lo_u32 v16, v2, s28
	s_cmp_lg_u32 s6, 0
	buffer_store_dword v0, off, s[36:39], 0 offset:2512 ; 4-byte Folded Spill
	buffer_store_dword v1, off, s[36:39], 0 offset:2516 ; 4-byte Folded Spill
	s_clause 0x13
	buffer_load_dword v8, off, s[36:39], 0 offset:496
	buffer_load_dword v9, off, s[36:39], 0 offset:500
	;; [unrolled: 1-line block ×20, first 2 shown]
	s_mov_b32 s14, 0xd7f4df2e
	s_mov_b32 s16, 0x16291751
	;; [unrolled: 1-line block ×4, first 2 shown]
	v_ashrrev_i32_e32 v17, 31, v16
	s_mov_b32 s24, 0xfefa39ef
	s_mov_b32 s26, 0x3b39803f
	;; [unrolled: 1-line block ×3, first 2 shown]
	s_cselect_b32 s30, -1, 0
	v_lshlrev_b64 v[16:17], 3, v[16:17]
	s_mov_b32 s15, 0x3fc7474d
	s_mov_b32 s17, 0x3fcc71c0
	s_mov_b32 s19, 0x3fd24924
	s_mov_b32 s21, 0x3fd99999
	s_mov_b32 s22, 0x55555780
	s_waitcnt lgkmcnt(0)
	v_add_co_u32 v2, vcc_lo, s12, v16
	v_add_co_ci_u32_e64 v3, null, s13, v17, vcc_lo
	v_add_co_u32 v24, vcc_lo, s0, v16
	v_add_co_ci_u32_e64 v25, null, s1, v17, vcc_lo
	;; [unrolled: 2-line block ×3, first 2 shown]
	s_mov_b32 s0, 0x55555555
	s_mov_b32 s2, 0x6b47b09a
	;; [unrolled: 1-line block ×8, first 2 shown]
	s_lshl_b32 s31, s6, 1
.LBB0_21:                               ; =>This Inner Loop Header: Depth=1
	buffer_store_dword v2, off, s[36:39], 0 offset:1736 ; 4-byte Folded Spill
	buffer_store_dword v3, off, s[36:39], 0 offset:1740 ; 4-byte Folded Spill
	s_andn2_b32 vcc_lo, exec_lo, s30
	global_load_dwordx2 v[16:17], v[2:3], off
	s_cbranch_vccnz .LBB0_23
; %bb.22:                               ;   in Loop: Header=BB0_21 Depth=1
	s_clause 0x1
	buffer_load_dword v0, off, s[36:39], 0 offset:1232
	buffer_load_dword v1, off, s[36:39], 0 offset:1236
	s_mov_b32 s23, 0
	s_waitcnt vmcnt(0)
	v_fma_f64 v[18:19], -v[112:113], v[0:1], v[16:17]
	s_clause 0x1
	buffer_load_dword v0, off, s[36:39], 0 offset:1224
	buffer_load_dword v1, off, s[36:39], 0 offset:1228
	s_waitcnt vmcnt(0)
	v_fma_f64 v[18:19], -v[114:115], v[0:1], v[18:19]
	s_clause 0x1
	buffer_load_dword v0, off, s[36:39], 0 offset:1248
	buffer_load_dword v1, off, s[36:39], 0 offset:1252
	;; [unrolled: 5-line block ×7, first 2 shown]
	s_waitcnt vmcnt(0)
	v_fma_f64 v[4:5], -v[126:127], v[0:1], v[18:19]
	s_branch .LBB0_24
.LBB0_23:                               ;   in Loop: Header=BB0_21 Depth=1
	s_mov_b32 s23, -1
                                        ; implicit-def: $vgpr4_vgpr5
.LBB0_24:                               ;   in Loop: Header=BB0_21 Depth=1
	s_andn2_b32 vcc_lo, exec_lo, s23
	buffer_store_dword v104, off, s[36:39], 0 offset:960 ; 4-byte Folded Spill
	buffer_store_dword v105, off, s[36:39], 0 offset:964 ; 4-byte Folded Spill
	;; [unrolled: 1-line block ×12, first 2 shown]
	s_cbranch_vccnz .LBB0_26
; %bb.25:                               ;   in Loop: Header=BB0_21 Depth=1
	s_waitcnt vmcnt(0)
	v_add_f64 v[4:5], v[16:17], -v[112:113]
.LBB0_26:                               ;   in Loop: Header=BB0_21 Depth=1
	s_clause 0x3
	buffer_load_dword v0, off, s[36:39], 0 offset:256
	buffer_load_dword v1, off, s[36:39], 0 offset:260
	;; [unrolled: 1-line block ×4, first 2 shown]
	buffer_store_dword v4, off, s[36:39], 0 offset:1208 ; 4-byte Folded Spill
	buffer_store_dword v5, off, s[36:39], 0 offset:1212 ; 4-byte Folded Spill
	s_andn2_b32 vcc_lo, exec_lo, s30
	s_waitcnt vmcnt(0)
	v_mov_b32_e32 v3, v1
	v_mov_b32_e32 v2, v0
	global_store_dwordx2 v[24:25], v[4:5], off
	buffer_store_dword v84, off, s[36:39], 0 offset:816 ; 4-byte Folded Spill
	buffer_store_dword v85, off, s[36:39], 0 offset:820 ; 4-byte Folded Spill
	;; [unrolled: 1-line block ×4, first 2 shown]
	s_clause 0x3
	buffer_load_dword v104, off, s[36:39], 0 offset:464
	buffer_load_dword v105, off, s[36:39], 0 offset:468
	;; [unrolled: 1-line block ×4, first 2 shown]
	s_cbranch_vccnz .LBB0_28
; %bb.27:                               ;   in Loop: Header=BB0_21 Depth=1
	s_clause 0x23
	buffer_load_dword v2, off, s[36:39], 0 offset:1232
	buffer_load_dword v3, off, s[36:39], 0 offset:1236
	;; [unrolled: 1-line block ×36, first 2 shown]
	v_mov_b32_e32 v103, v55
	v_mov_b32_e32 v102, v54
	;; [unrolled: 1-line block ×12, first 2 shown]
	s_waitcnt vmcnt(32)
	v_mul_f64 v[16:17], v[34:35], v[2:3]
	s_waitcnt vmcnt(28)
	v_mul_f64 v[18:19], v[38:39], v[2:3]
	v_fma_f64 v[16:17], v[16:17], v[2:3], 0
	s_waitcnt vmcnt(24)
	v_fma_f64 v[16:17], v[18:19], v[0:1], v[16:17]
	v_mul_f64 v[18:19], v[108:109], v[2:3]
	s_waitcnt vmcnt(22)
	v_fma_f64 v[16:17], v[18:19], v[6:7], v[16:17]
	v_mul_f64 v[18:19], v[64:65], v[2:3]
	s_waitcnt vmcnt(20)
	v_fma_f64 v[16:17], v[18:19], v[4:5], v[16:17]
	s_waitcnt vmcnt(18)
	v_mul_f64 v[18:19], v[84:85], v[2:3]
	s_waitcnt vmcnt(14)
	v_fma_f64 v[16:17], v[18:19], v[14:15], v[16:17]
	s_waitcnt vmcnt(12)
	v_mul_f64 v[18:19], v[76:77], v[2:3]
	s_waitcnt vmcnt(8)
	v_fma_f64 v[16:17], v[18:19], v[12:13], v[16:17]
	v_mul_f64 v[18:19], v[68:69], v[2:3]
	s_waitcnt vmcnt(6)
	v_fma_f64 v[16:17], v[18:19], v[22:23], v[16:17]
	;; [unrolled: 3-line block ×3, first 2 shown]
	v_mul_f64 v[18:19], v[36:37], v[0:1]
	s_clause 0x3
	buffer_load_dword v34, off, s[36:39], 0 offset:432
	buffer_load_dword v35, off, s[36:39], 0 offset:436
	;; [unrolled: 1-line block ×4, first 2 shown]
	v_fma_f64 v[16:17], v[18:19], v[2:3], v[16:17]
	v_mul_f64 v[18:19], v[40:41], v[0:1]
	s_clause 0x3
	buffer_load_dword v38, off, s[36:39], 0 offset:416
	buffer_load_dword v39, off, s[36:39], 0 offset:420
	;; [unrolled: 1-line block ×4, first 2 shown]
	v_fma_f64 v[16:17], v[18:19], v[0:1], v[16:17]
	v_mul_f64 v[18:19], v[110:111], v[0:1]
	v_fma_f64 v[16:17], v[18:19], v[6:7], v[16:17]
	v_mul_f64 v[18:19], v[66:67], v[0:1]
	s_clause 0x7
	buffer_load_dword v64, off, s[36:39], 0 offset:864
	buffer_load_dword v65, off, s[36:39], 0 offset:868
	;; [unrolled: 1-line block ×8, first 2 shown]
	v_fma_f64 v[16:17], v[18:19], v[4:5], v[16:17]
	v_mul_f64 v[18:19], v[86:87], v[0:1]
	v_mov_b32_e32 v84, v92
	v_mov_b32_e32 v85, v93
	;; [unrolled: 1-line block ×8, first 2 shown]
	v_fma_f64 v[16:17], v[18:19], v[14:15], v[16:17]
	v_mul_f64 v[18:19], v[78:79], v[0:1]
	s_clause 0x3
	buffer_load_dword v76, off, s[36:39], 0 offset:736
	buffer_load_dword v77, off, s[36:39], 0 offset:740
	buffer_load_dword v78, off, s[36:39], 0 offset:744
	buffer_load_dword v79, off, s[36:39], 0 offset:748
	v_fma_f64 v[16:17], v[18:19], v[12:13], v[16:17]
	v_mul_f64 v[18:19], v[70:71], v[0:1]
	v_fma_f64 v[16:17], v[18:19], v[22:23], v[16:17]
	v_mul_f64 v[18:19], v[62:63], v[0:1]
	v_fma_f64 v[16:17], v[18:19], v[20:21], v[16:17]
	s_waitcnt vmcnt(18)
	v_mul_f64 v[18:19], v[34:35], v[6:7]
	v_fma_f64 v[16:17], v[18:19], v[2:3], v[16:17]
	s_waitcnt vmcnt(14)
	;; [unrolled: 3-line block ×3, first 2 shown]
	v_mul_f64 v[18:19], v[64:65], v[6:7]
	v_fma_f64 v[16:17], v[18:19], v[6:7], v[16:17]
	v_mul_f64 v[18:19], v[104:105], v[6:7]
	v_fma_f64 v[16:17], v[18:19], v[4:5], v[16:17]
	s_waitcnt vmcnt(6)
	v_mul_f64 v[18:19], v[88:89], v[6:7]
	v_fma_f64 v[16:17], v[18:19], v[14:15], v[16:17]
	s_waitcnt vmcnt(2)
	v_mul_f64 v[18:19], v[76:77], v[6:7]
	v_fma_f64 v[16:17], v[18:19], v[12:13], v[16:17]
	v_mul_f64 v[18:19], v[80:81], v[6:7]
	v_fma_f64 v[16:17], v[18:19], v[22:23], v[16:17]
	;; [unrolled: 2-line block ×4, first 2 shown]
	v_mul_f64 v[18:19], v[40:41], v[4:5]
	v_mov_b32_e32 v38, v108
	v_mov_b32_e32 v39, v109
	;; [unrolled: 1-line block ×4, first 2 shown]
	v_fma_f64 v[16:17], v[18:19], v[0:1], v[16:17]
	v_mul_f64 v[18:19], v[66:67], v[4:5]
	v_mov_b32_e32 v64, v104
	v_mov_b32_e32 v66, v106
	;; [unrolled: 1-line block ×4, first 2 shown]
	s_clause 0x7
	buffer_load_dword v104, off, s[36:39], 0 offset:784
	buffer_load_dword v105, off, s[36:39], 0 offset:788
	;; [unrolled: 1-line block ×8, first 2 shown]
	v_fma_f64 v[16:17], v[18:19], v[6:7], v[16:17]
	v_mul_f64 v[18:19], v[66:67], v[4:5]
	s_clause 0x3
	buffer_load_dword v64, off, s[36:39], 0 offset:960
	buffer_load_dword v65, off, s[36:39], 0 offset:964
	;; [unrolled: 1-line block ×4, first 2 shown]
	v_fma_f64 v[16:17], v[18:19], v[4:5], v[16:17]
	v_mul_f64 v[18:19], v[90:91], v[4:5]
	v_fma_f64 v[16:17], v[18:19], v[14:15], v[16:17]
	s_waitcnt vmcnt(12)
	v_mul_f64 v[18:19], v[78:79], v[4:5]
	v_fma_f64 v[16:17], v[18:19], v[12:13], v[16:17]
	v_mul_f64 v[18:19], v[82:83], v[4:5]
	s_clause 0x13
	buffer_load_dword v80, off, s[36:39], 0 offset:944
	buffer_load_dword v81, off, s[36:39], 0 offset:948
	;; [unrolled: 1-line block ×20, first 2 shown]
	v_fma_f64 v[16:17], v[18:19], v[22:23], v[16:17]
	v_mul_f64 v[18:19], v[32:33], v[4:5]
	v_fma_f64 v[16:17], v[18:19], v[20:21], v[16:17]
	s_waitcnt vmcnt(22)
	v_mul_f64 v[18:19], v[64:65], v[14:15]
	v_fma_f64 v[16:17], v[18:19], v[2:3], v[16:17]
	s_waitcnt vmcnt(18)
	;; [unrolled: 3-line block ×6, first 2 shown]
	v_mul_f64 v[18:19], v[34:35], v[14:15]
	v_fma_f64 v[16:17], v[18:19], v[12:13], v[16:17]
	v_mul_f64 v[18:19], v[56:57], v[14:15]
	v_fma_f64 v[16:17], v[18:19], v[22:23], v[16:17]
	;; [unrolled: 2-line block ×3, first 2 shown]
	v_mul_f64 v[18:19], v[66:67], v[12:13]
	v_mov_b32_e32 v67, v54
	v_mov_b32_e32 v66, v53
	v_mov_b32_e32 v65, v52
	v_mov_b32_e32 v64, v51
	v_mov_b32_e32 v52, v100
	v_mov_b32_e32 v53, v101
	v_mov_b32_e32 v54, v102
	v_mov_b32_e32 v55, v103
	v_fma_f64 v[16:17], v[18:19], v[2:3], v[16:17]
	v_mul_f64 v[18:19], v[82:83], v[12:13]
	v_mov_b32_e32 v80, v108
	v_mov_b32_e32 v81, v109
	v_mov_b32_e32 v82, v110
	v_mov_b32_e32 v83, v111
	v_mov_b32_e32 v111, v41
	v_mov_b32_e32 v110, v40
	v_mov_b32_e32 v109, v39
	v_mov_b32_e32 v108, v38
	v_fma_f64 v[16:17], v[18:19], v[0:1], v[16:17]
	;; [unrolled: 10-line block ×3, first 2 shown]
	v_mul_f64 v[18:19], v[90:91], v[12:13]
	s_clause 0x3
	buffer_load_dword v88, off, s[36:39], 0 offset:400
	buffer_load_dword v89, off, s[36:39], 0 offset:404
	;; [unrolled: 1-line block ×4, first 2 shown]
	v_fma_f64 v[16:17], v[18:19], v[4:5], v[16:17]
	v_mul_f64 v[18:19], v[78:79], v[12:13]
	s_clause 0x3
	buffer_load_dword v76, off, s[36:39], 0 offset:832
	buffer_load_dword v77, off, s[36:39], 0 offset:836
	buffer_load_dword v78, off, s[36:39], 0 offset:840
	buffer_load_dword v79, off, s[36:39], 0 offset:844
	v_fma_f64 v[16:17], v[18:19], v[14:15], v[16:17]
	s_waitcnt vmcnt(8)
	v_mul_f64 v[18:19], v[36:37], v[12:13]
	v_fma_f64 v[16:17], v[18:19], v[12:13], v[16:17]
	v_mul_f64 v[18:19], v[58:59], v[12:13]
	v_fma_f64 v[16:17], v[18:19], v[22:23], v[16:17]
	;; [unrolled: 2-line block ×5, first 2 shown]
	s_waitcnt vmcnt(6)
	v_mul_f64 v[18:19], v[88:89], v[22:23]
	v_fma_f64 v[16:17], v[18:19], v[6:7], v[16:17]
	v_mul_f64 v[18:19], v[42:43], v[22:23]
	v_fma_f64 v[16:17], v[18:19], v[4:5], v[16:17]
	s_waitcnt vmcnt(2)
	v_mul_f64 v[18:19], v[76:77], v[22:23]
	v_fma_f64 v[16:17], v[18:19], v[14:15], v[16:17]
	v_mul_f64 v[18:19], v[72:73], v[22:23]
	v_fma_f64 v[16:17], v[18:19], v[12:13], v[16:17]
	v_mul_f64 v[18:19], v[52:53], v[22:23]
	v_fma_f64 v[16:17], v[18:19], v[22:23], v[16:17]
	v_mul_f64 v[18:19], v[92:93], v[22:23]
	v_fma_f64 v[16:17], v[18:19], v[20:21], v[16:17]
	v_mul_f64 v[18:19], v[82:83], v[20:21]
	v_mov_b32_e32 v83, v49
	v_mov_b32_e32 v82, v48
	;; [unrolled: 1-line block ×4, first 2 shown]
	v_fma_f64 v[16:17], v[18:19], v[2:3], v[16:17]
	v_mul_f64 v[18:19], v[106:107], v[20:21]
	v_fma_f64 v[16:17], v[18:19], v[0:1], v[16:17]
	v_mul_f64 v[18:19], v[90:91], v[20:21]
	;; [unrolled: 2-line block ×3, first 2 shown]
	v_fma_f64 v[16:17], v[18:19], v[4:5], v[16:17]
	s_waitcnt vmcnt(0)
	v_mul_f64 v[18:19], v[78:79], v[20:21]
	v_fma_f64 v[16:17], v[18:19], v[14:15], v[16:17]
	v_mul_f64 v[18:19], v[74:75], v[20:21]
	v_fma_f64 v[16:17], v[18:19], v[12:13], v[16:17]
	v_mul_f64 v[18:19], v[54:55], v[20:21]
	v_fma_f64 v[16:17], v[18:19], v[22:23], v[16:17]
	v_mul_f64 v[18:19], v[94:95], v[20:21]
	v_fma_f64 v[2:3], v[18:19], v[20:21], v[16:17]
.LBB0_28:                               ;   in Loop: Header=BB0_21 Depth=1
	s_cmp_lt_i32 s29, s6
	global_store_dwordx2 v[26:27], v[2:3], off
	buffer_store_dword v112, off, s[36:39], 0 offset:1040 ; 4-byte Folded Spill
	buffer_store_dword v113, off, s[36:39], 0 offset:1044 ; 4-byte Folded Spill
	;; [unrolled: 1-line block ×62, first 2 shown]
	s_cbranch_scc1 .LBB0_30
; %bb.29:                               ;   in Loop: Header=BB0_21 Depth=1
	v_frexp_mant_f64_e32 v[16:17], v[2:3]
	s_mov_b32 s23, s1
	v_frexp_exp_i32_f64_e32 v0, v[2:3]
	v_cmp_gt_f64_e32 vcc_lo, s[0:1], v[16:17]
	v_cndmask_b32_e64 v1, 0, 1, vcc_lo
	v_subrev_co_ci_u32_e64 v0, null, 0, v0, vcc_lo
	v_cmp_class_f64_e64 vcc_lo, v[2:3], 0x204
	v_ldexp_f64 v[16:17], v[16:17], v1
	v_add_f64 v[24:25], v[16:17], 1.0
	v_add_f64 v[20:21], v[16:17], -1.0
	v_add_f64 v[26:27], v[24:25], -1.0
	v_add_f64 v[16:17], v[16:17], -v[26:27]
	v_rcp_f64_e32 v[26:27], v[24:25]
	v_fma_f64 v[28:29], -v[24:25], v[26:27], 1.0
	v_fma_f64 v[26:27], v[28:29], v[26:27], v[26:27]
	v_fma_f64 v[28:29], -v[24:25], v[26:27], 1.0
	v_fma_f64 v[26:27], v[28:29], v[26:27], v[26:27]
	v_mul_f64 v[28:29], v[20:21], v[26:27]
	v_mul_f64 v[30:31], v[24:25], v[28:29]
	v_fma_f64 v[24:25], v[28:29], v[24:25], -v[30:31]
	v_fma_f64 v[16:17], v[28:29], v[16:17], v[24:25]
	v_add_f64 v[24:25], v[30:31], v[16:17]
	v_add_f64 v[22:23], v[20:21], -v[24:25]
	v_add_f64 v[30:31], v[24:25], -v[30:31]
	;; [unrolled: 1-line block ×5, first 2 shown]
	v_add_f64 v[16:17], v[16:17], v[20:21]
	v_add_f64 v[16:17], v[22:23], v[16:17]
	v_mul_f64 v[16:17], v[26:27], v[16:17]
	v_add_f64 v[20:21], v[28:29], v[16:17]
	v_add_f64 v[22:23], v[20:21], -v[28:29]
	v_ldexp_f64 v[26:27], v[20:21], 1
	v_add_f64 v[16:17], v[16:17], -v[22:23]
	v_mul_f64 v[22:23], v[20:21], v[20:21]
	v_ldexp_f64 v[16:17], v[16:17], 1
	v_fma_f64 v[24:25], v[22:23], s[12:13], s[2:3]
	v_mul_f64 v[20:21], v[20:21], v[22:23]
	v_fma_f64 v[24:25], v[22:23], v[24:25], s[14:15]
	v_fma_f64 v[24:25], v[22:23], v[24:25], s[16:17]
	;; [unrolled: 1-line block ×5, first 2 shown]
	v_mul_f64 v[20:21], v[20:21], v[24:25]
	v_add_f64 v[22:23], v[26:27], v[20:21]
	v_add_f64 v[24:25], v[22:23], -v[26:27]
	v_add_f64 v[20:21], v[20:21], -v[24:25]
	v_add_f64 v[16:17], v[16:17], v[20:21]
	v_add_f64 v[20:21], v[22:23], v[16:17]
	v_add_f64 v[22:23], v[20:21], -v[22:23]
	v_add_f64 v[16:17], v[16:17], -v[22:23]
	v_cvt_f64_i32_e32 v[22:23], v0
	v_mul_f64 v[24:25], v[22:23], s[24:25]
	v_fma_f64 v[26:27], v[22:23], s[24:25], -v[24:25]
	v_fma_f64 v[22:23], v[22:23], s[26:27], v[26:27]
	v_add_f64 v[26:27], v[24:25], v[22:23]
	v_add_f64 v[24:25], v[26:27], -v[24:25]
	v_add_f64 v[22:23], v[22:23], -v[24:25]
	v_add_f64 v[24:25], v[26:27], v[20:21]
	v_add_f64 v[28:29], v[24:25], -v[26:27]
	v_add_f64 v[30:31], v[24:25], -v[28:29]
	;; [unrolled: 1-line block ×4, first 2 shown]
	v_add_f64 v[20:21], v[20:21], v[26:27]
	v_add_f64 v[26:27], v[22:23], v[16:17]
	v_add_f64 v[28:29], v[26:27], -v[22:23]
	v_add_f64 v[20:21], v[26:27], v[20:21]
	v_add_f64 v[30:31], v[26:27], -v[28:29]
	v_add_f64 v[16:17], v[16:17], -v[28:29]
	;; [unrolled: 1-line block ×3, first 2 shown]
	v_add_f64 v[16:17], v[16:17], v[22:23]
	v_add_f64 v[22:23], v[24:25], v[20:21]
	v_add_f64 v[24:25], v[22:23], -v[24:25]
	v_add_f64 v[20:21], v[20:21], -v[24:25]
	v_add_f64 v[16:17], v[16:17], v[20:21]
	v_add_f64 v[16:17], v[22:23], v[16:17]
	v_cndmask_b32_e32 v0, v16, v2, vcc_lo
	v_cndmask_b32_e32 v1, v17, v3, vcc_lo
	v_cmp_ngt_f64_e32 vcc_lo, 0, v[2:3]
	v_cndmask_b32_e32 v1, 0x7ff80000, v1, vcc_lo
	v_cmp_nge_f64_e32 vcc_lo, 0, v[2:3]
	v_cndmask_b32_e32 v16, 0, v0, vcc_lo
	v_cmp_neq_f64_e32 vcc_lo, 0, v[2:3]
	v_cndmask_b32_e32 v17, 0xfff00000, v1, vcc_lo
	s_clause 0x1
	buffer_load_dword v0, off, s[36:39], 0 offset:2512
	buffer_load_dword v1, off, s[36:39], 0 offset:2516
	s_waitcnt vmcnt(0)
	v_add_f64 v[0:1], v[0:1], v[16:17]
	buffer_store_dword v0, off, s[36:39], 0 offset:2512 ; 4-byte Folded Spill
	buffer_store_dword v1, off, s[36:39], 0 offset:2516 ; 4-byte Folded Spill
.LBB0_30:                               ;   in Loop: Header=BB0_21 Depth=1
	s_clause 0x2b
	buffer_load_dword v56, off, s[36:39], 0 offset:944
	buffer_load_dword v57, off, s[36:39], 0 offset:948
	;; [unrolled: 1-line block ×44, first 2 shown]
	v_mov_b32_e32 v80, v96
	v_mov_b32_e32 v81, v97
	;; [unrolled: 1-line block ×4, first 2 shown]
	s_andn2_b32 vcc_lo, exec_lo, s30
	s_waitcnt vmcnt(30)
	v_fma_f64 v[16:17], v[52:53], v[124:125], 0
	s_waitcnt vmcnt(26)
	v_fma_f64 v[22:23], v[4:5], v[124:125], 0
	v_fma_f64 v[20:21], v[54:55], v[124:125], 0
	;; [unrolled: 1-line block ×3, first 2 shown]
	s_waitcnt vmcnt(24)
	v_fma_f64 v[36:37], v[6:7], v[108:109], 0
	s_waitcnt vmcnt(16)
	v_fma_f64 v[28:29], v[10:11], v[124:125], 0
	;; [unrolled: 2-line block ×4, first 2 shown]
	v_fma_f64 v[26:27], v[8:9], v[120:121], 0
	v_fma_f64 v[18:19], v[10:11], v[120:121], 0
	;; [unrolled: 1-line block ×12, first 2 shown]
	s_waitcnt vmcnt(0)
	v_fma_f64 v[24:25], v[14:15], v[122:123], v[24:25]
	v_fma_f64 v[26:27], v[40:41], v[122:123], v[26:27]
	v_fma_f64 v[18:19], v[42:43], v[122:123], v[18:19]
	v_fma_f64 v[4:5], v[14:15], v[110:111], v[36:37]
	v_fma_f64 v[98:99], v[70:71], v[110:111], v[116:117]
	v_fma_f64 v[50:51], v[14:15], v[126:127], v[22:23]
	v_fma_f64 v[22:23], v[8:9], v[124:125], 0
	v_fma_f64 v[124:125], v[62:63], v[124:125], 0
	v_fma_f64 v[16:17], v[82:83], v[122:123], v[16:17]
	v_fma_f64 v[20:21], v[12:13], v[122:123], v[20:21]
	v_fma_f64 v[12:13], v[12:13], v[110:111], v[34:35]
	v_fma_f64 v[72:73], v[40:41], v[126:127], v[22:23]
	v_fma_f64 v[76:77], v[70:71], v[126:127], v[124:125]
	v_fma_f64 v[126:127], v[52:53], v[120:121], 0
	v_fma_f64 v[22:23], v[60:61], v[120:121], 0
	v_fma_f64 v[120:121], v[62:63], v[120:121], 0
	v_fma_f64 v[126:127], v[80:81], v[122:123], v[126:127]
	v_fma_f64 v[22:23], v[68:69], v[122:123], v[22:23]
	v_fma_f64 v[88:89], v[70:71], v[122:123], v[120:121]
	v_fma_f64 v[122:123], v[52:53], v[108:109], 0
	v_fma_f64 v[32:33], v[80:81], v[110:111], v[122:123]
	buffer_store_dword v32, off, s[36:39], 0 offset:256 ; 4-byte Folded Spill
	buffer_store_dword v33, off, s[36:39], 0 offset:260 ; 4-byte Folded Spill
	v_fma_f64 v[32:33], v[54:55], v[108:109], 0
	v_fma_f64 v[0:1], v[82:83], v[110:111], v[32:33]
	buffer_store_dword v0, off, s[36:39], 0 offset:448 ; 4-byte Folded Spill
	buffer_store_dword v1, off, s[36:39], 0 offset:452 ; 4-byte Folded Spill
	;; [unrolled: 1-line block ×6, first 2 shown]
	v_fma_f64 v[4:5], v[40:41], v[110:111], v[38:39]
	v_fma_f64 v[40:41], v[10:11], v[108:109], 0
	v_mov_b32_e32 v39, v11
	v_mov_b32_e32 v38, v10
	;; [unrolled: 1-line block ×4, first 2 shown]
	buffer_store_dword v4, off, s[36:39], 0 offset:984 ; 4-byte Folded Spill
	buffer_store_dword v5, off, s[36:39], 0 offset:988 ; 4-byte Folded Spill
	v_fma_f64 v[4:5], v[42:43], v[110:111], v[40:41]
	v_fma_f64 v[42:43], v[60:61], v[108:109], 0
	buffer_store_dword v4, off, s[36:39], 0 offset:992 ; 4-byte Folded Spill
	buffer_store_dword v5, off, s[36:39], 0 offset:996 ; 4-byte Folded Spill
	v_fma_f64 v[0:1], v[68:69], v[110:111], v[42:43]
	buffer_store_dword v0, off, s[36:39], 0 offset:1000 ; 4-byte Folded Spill
	buffer_store_dword v1, off, s[36:39], 0 offset:1004 ; 4-byte Folded Spill
	s_clause 0xf
	buffer_load_dword v118, off, s[36:39], 0 offset:656
	buffer_load_dword v119, off, s[36:39], 0 offset:660
	;; [unrolled: 1-line block ×16, first 2 shown]
	s_waitcnt vmcnt(10)
	v_fma_f64 v[116:117], v[118:119], v[112:113], v[44:45]
	v_fma_f64 v[44:45], v[120:121], v[112:113], v[46:47]
	s_waitcnt vmcnt(6)
	v_fma_f64 v[46:47], v[40:41], v[112:113], v[48:49]
	s_waitcnt vmcnt(4)
	;; [unrolled: 2-line block ×3, first 2 shown]
	v_mov_b32_e32 v7, v3
	v_fma_f64 v[50:51], v[0:1], v[112:113], v[72:73]
	v_fma_f64 v[28:29], v[2:3], v[112:113], v[28:29]
	v_mov_b32_e32 v6, v2
	v_mov_b32_e32 v5, v1
	;; [unrolled: 1-line block ×3, first 2 shown]
	s_clause 0x3
	buffer_load_dword v0, off, s[36:39], 0 offset:192
	buffer_load_dword v1, off, s[36:39], 0 offset:196
	buffer_load_dword v2, off, s[36:39], 0 offset:200
	buffer_load_dword v3, off, s[36:39], 0 offset:204
	s_waitcnt vmcnt(2)
	v_fma_f64 v[30:31], v[0:1], v[112:113], v[30:31]
	s_waitcnt vmcnt(0)
	v_mov_b32_e32 v11, v3
	v_fma_f64 v[112:113], v[2:3], v[112:113], v[76:77]
	v_mov_b32_e32 v10, v2
	v_mov_b32_e32 v9, v1
	;; [unrolled: 1-line block ×3, first 2 shown]
	s_clause 0x3
	buffer_load_dword v0, off, s[36:39], 0 offset:64
	buffer_load_dword v1, off, s[36:39], 0 offset:68
	;; [unrolled: 1-line block ×4, first 2 shown]
	s_waitcnt vmcnt(2)
	v_fma_f64 v[116:117], v[0:1], v[114:115], v[116:117]
	s_waitcnt vmcnt(0)
	v_mov_b32_e32 v15, v3
	v_fma_f64 v[44:45], v[2:3], v[114:115], v[44:45]
	v_mov_b32_e32 v14, v2
	v_mov_b32_e32 v13, v1
	;; [unrolled: 1-line block ×3, first 2 shown]
	s_clause 0xf
	buffer_load_dword v0, off, s[36:39], 0
	buffer_load_dword v1, off, s[36:39], 0 offset:4
	buffer_load_dword v2, off, s[36:39], 0 offset:8
	;; [unrolled: 1-line block ×15, first 2 shown]
	s_waitcnt vmcnt(14)
	v_fma_f64 v[46:47], v[0:1], v[114:115], v[46:47]
	s_waitcnt vmcnt(10)
	v_fma_f64 v[50:51], v[76:77], v[114:115], v[50:51]
	v_mov_b32_e32 v35, v3
	v_fma_f64 v[48:49], v[2:3], v[114:115], v[48:49]
	v_mov_b32_e32 v34, v2
	v_mov_b32_e32 v33, v1
	;; [unrolled: 1-line block ×3, first 2 shown]
	s_clause 0x3
	buffer_load_dword v0, off, s[36:39], 0 offset:224
	buffer_load_dword v1, off, s[36:39], 0 offset:228
	;; [unrolled: 1-line block ×4, first 2 shown]
	s_waitcnt vmcnt(12)
	v_fma_f64 v[28:29], v[78:79], v[114:115], v[28:29]
	s_waitcnt vmcnt(10)
	v_fma_f64 v[30:31], v[60:61], v[114:115], v[30:31]
	;; [unrolled: 2-line block ×4, first 2 shown]
	v_fma_f64 v[16:17], v[120:121], v[108:109], v[16:17]
	v_fma_f64 v[20:21], v[40:41], v[108:109], v[20:21]
	;; [unrolled: 1-line block ×7, first 2 shown]
	s_waitcnt vmcnt(4)
	v_fma_f64 v[114:115], v[12:13], v[110:111], v[114:115]
	v_fma_f64 v[16:17], v[14:15], v[110:111], v[16:17]
	;; [unrolled: 1-line block ×8, first 2 shown]
	s_waitcnt vmcnt(2)
	v_fma_f64 v[110:111], v[0:1], v[64:65], v[116:117]
	s_waitcnt vmcnt(0)
	v_mov_b32_e32 v7, v3
	v_fma_f64 v[44:45], v[2:3], v[64:65], v[44:45]
	v_mov_b32_e32 v6, v2
	v_mov_b32_e32 v5, v1
	;; [unrolled: 1-line block ×3, first 2 shown]
	s_clause 0x3
	buffer_load_dword v0, off, s[36:39], 0 offset:96
	buffer_load_dword v1, off, s[36:39], 0 offset:100
	buffer_load_dword v2, off, s[36:39], 0 offset:104
	buffer_load_dword v3, off, s[36:39], 0 offset:108
	v_fma_f64 v[16:17], v[6:7], v[56:57], v[16:17]
	v_fma_f64 v[106:107], v[4:5], v[56:57], v[114:115]
	s_waitcnt vmcnt(2)
	v_fma_f64 v[46:47], v[0:1], v[64:65], v[46:47]
	s_waitcnt vmcnt(0)
	v_mov_b32_e32 v11, v3
	v_fma_f64 v[48:49], v[2:3], v[64:65], v[48:49]
	v_mov_b32_e32 v10, v2
	v_mov_b32_e32 v9, v1
	;; [unrolled: 1-line block ×3, first 2 shown]
	s_clause 0xb
	buffer_load_dword v0, off, s[36:39], 0 offset:48
	buffer_load_dword v1, off, s[36:39], 0 offset:52
	;; [unrolled: 1-line block ×12, first 2 shown]
	v_fma_f64 v[24:25], v[10:11], v[56:57], v[24:25]
	v_fma_f64 v[20:21], v[8:9], v[56:57], v[20:21]
	s_waitcnt vmcnt(10)
	v_fma_f64 v[50:51], v[0:1], v[64:65], v[50:51]
	s_waitcnt vmcnt(6)
	v_fma_f64 v[30:31], v[72:73], v[64:65], v[30:31]
	v_mov_b32_e32 v15, v3
	v_fma_f64 v[28:29], v[2:3], v[64:65], v[28:29]
	v_mov_b32_e32 v14, v2
	v_mov_b32_e32 v13, v1
	;; [unrolled: 1-line block ×3, first 2 shown]
	s_clause 0x7
	buffer_load_dword v0, off, s[36:39], 0 offset:352
	buffer_load_dword v1, off, s[36:39], 0 offset:356
	;; [unrolled: 1-line block ×8, first 2 shown]
	s_waitcnt vmcnt(12)
	v_fma_f64 v[104:105], v[74:75], v[64:65], v[112:113]
	s_waitcnt vmcnt(10)
	v_fma_f64 v[110:111], v[94:95], v[66:67], v[110:111]
	;; [unrolled: 2-line block ×3, first 2 shown]
	v_fma_f64 v[26:27], v[12:13], v[56:57], v[26:27]
	v_fma_f64 v[18:19], v[14:15], v[56:57], v[18:19]
	;; [unrolled: 1-line block ×6, first 2 shown]
	s_waitcnt vmcnt(6)
	v_fma_f64 v[46:47], v[0:1], v[66:67], v[46:47]
	s_waitcnt vmcnt(2)
	v_fma_f64 v[50:51], v[90:91], v[66:67], v[50:51]
	v_mov_b32_e32 v35, v3
	v_fma_f64 v[48:49], v[2:3], v[66:67], v[48:49]
	v_mov_b32_e32 v34, v2
	v_mov_b32_e32 v33, v1
	;; [unrolled: 1-line block ×3, first 2 shown]
	s_clause 0x3
	buffer_load_dword v0, off, s[36:39], 0 offset:320
	buffer_load_dword v1, off, s[36:39], 0 offset:324
	buffer_load_dword v2, off, s[36:39], 0 offset:328
	buffer_load_dword v3, off, s[36:39], 0 offset:332
	s_waitcnt vmcnt(4)
	v_fma_f64 v[28:29], v[92:93], v[66:67], v[28:29]
	v_fma_f64 v[24:25], v[34:35], v[58:59], v[24:25]
	;; [unrolled: 1-line block ×5, first 2 shown]
	s_waitcnt vmcnt(2)
	v_fma_f64 v[30:31], v[0:1], v[66:67], v[30:31]
	s_waitcnt vmcnt(0)
	v_fma_f64 v[104:105], v[2:3], v[66:67], v[104:105]
	v_mov_b32_e32 v67, v3
	v_mov_b32_e32 v66, v2
	;; [unrolled: 1-line block ×4, first 2 shown]
	s_clause 0xb
	buffer_load_dword v0, off, s[36:39], 0 offset:144
	buffer_load_dword v1, off, s[36:39], 0 offset:148
	;; [unrolled: 1-line block ×12, first 2 shown]
	v_fma_f64 v[100:101], v[66:67], v[58:59], v[100:101]
	s_clause 0x3
	buffer_load_dword v6, off, s[36:39], 0 offset:672
	buffer_load_dword v7, off, s[36:39], 0 offset:676
	;; [unrolled: 1-line block ×4, first 2 shown]
	v_fma_f64 v[114:115], v[64:65], v[58:59], v[22:23]
	s_clause 0x7
	buffer_load_dword v32, off, s[36:39], 0 offset:720
	buffer_load_dword v33, off, s[36:39], 0 offset:724
	;; [unrolled: 1-line block ×8, first 2 shown]
	s_waitcnt vmcnt(20)
	v_mov_b32_e32 v13, v3
	v_mov_b32_e32 v12, v2
	s_waitcnt vmcnt(18)
	v_fma_f64 v[20:21], v[0:1], v[84:85], v[110:111]
	v_mov_b32_e32 v11, v1
	v_mov_b32_e32 v10, v0
	v_fma_f64 v[22:23], v[2:3], v[84:85], v[44:45]
	s_waitcnt vmcnt(14)
	v_fma_f64 v[44:45], v[122:123], v[84:85], v[46:47]
	s_waitcnt vmcnt(12)
	;; [unrolled: 2-line block ×5, first 2 shown]
	v_fma_f64 v[50:51], v[34:35], v[84:85], v[104:105]
	v_fma_f64 v[30:31], v[32:33], v[84:85], v[30:31]
	s_waitcnt vmcnt(2)
	v_fma_f64 v[0:1], v[56:57], v[86:87], v[20:21]
	buffer_store_dword v0, off, s[36:39], 0 offset:1472 ; 4-byte Folded Spill
	buffer_store_dword v1, off, s[36:39], 0 offset:1476 ; 4-byte Folded Spill
	s_waitcnt vmcnt(0)
	v_fma_f64 v[0:1], v[58:59], v[86:87], v[22:23]
	buffer_store_dword v0, off, s[36:39], 0 offset:1448 ; 4-byte Folded Spill
	buffer_store_dword v1, off, s[36:39], 0 offset:1452 ; 4-byte Folded Spill
	s_clause 0x3
	buffer_load_dword v0, off, s[36:39], 0 offset:112
	buffer_load_dword v1, off, s[36:39], 0 offset:116
	;; [unrolled: 1-line block ×4, first 2 shown]
	s_waitcnt vmcnt(2)
	v_fma_f64 v[4:5], v[0:1], v[86:87], v[44:45]
	buffer_store_dword v4, off, s[36:39], 0 offset:1424 ; 4-byte Folded Spill
	buffer_store_dword v5, off, s[36:39], 0 offset:1428 ; 4-byte Folded Spill
	s_waitcnt vmcnt(0)
	v_fma_f64 v[4:5], v[2:3], v[86:87], v[46:47]
	buffer_store_dword v4, off, s[36:39], 0 offset:1408 ; 4-byte Folded Spill
	buffer_store_dword v5, off, s[36:39], 0 offset:1412 ; 4-byte Folded Spill
	s_clause 0x3
	buffer_load_dword v20, off, s[36:39], 0 offset:240
	buffer_load_dword v21, off, s[36:39], 0 offset:244
	;; [unrolled: 1-line block ×4, first 2 shown]
	v_mov_b32_e32 v5, v3
	v_mov_b32_e32 v4, v2
	;; [unrolled: 1-line block ×4, first 2 shown]
	s_waitcnt vmcnt(2)
	v_fma_f64 v[0:1], v[20:21], v[86:87], v[48:49]
	buffer_store_dword v0, off, s[36:39], 0 offset:1376 ; 4-byte Folded Spill
	buffer_store_dword v1, off, s[36:39], 0 offset:1380 ; 4-byte Folded Spill
	s_waitcnt vmcnt(0)
	v_fma_f64 v[0:1], v[22:23], v[86:87], v[28:29]
	buffer_store_dword v0, off, s[36:39], 0 offset:1336 ; 4-byte Folded Spill
	buffer_store_dword v1, off, s[36:39], 0 offset:1340 ; 4-byte Folded Spill
	s_clause 0x3
	buffer_load_dword v102, off, s[36:39], 0 offset:368
	buffer_load_dword v103, off, s[36:39], 0 offset:372
	;; [unrolled: 1-line block ×4, first 2 shown]
	s_waitcnt vmcnt(2)
	v_fma_f64 v[0:1], v[102:103], v[86:87], v[30:31]
	buffer_store_dword v0, off, s[36:39], 0 offset:1312 ; 4-byte Folded Spill
	buffer_store_dword v1, off, s[36:39], 0 offset:1316 ; 4-byte Folded Spill
	s_waitcnt vmcnt(0)
	v_fma_f64 v[0:1], v[104:105], v[86:87], v[50:51]
	buffer_store_dword v0, off, s[36:39], 0 offset:1304 ; 4-byte Folded Spill
	buffer_store_dword v1, off, s[36:39], 0 offset:1308 ; 4-byte Folded Spill
	s_clause 0x3
	buffer_load_dword v48, off, s[36:39], 0 offset:784
	buffer_load_dword v49, off, s[36:39], 0 offset:788
	;; [unrolled: 1-line block ×4, first 2 shown]
	s_waitcnt vmcnt(2)
	v_fma_f64 v[28:29], v[10:11], v[48:49], v[106:107]
	v_fma_f64 v[16:17], v[12:13], v[48:49], v[16:17]
	;; [unrolled: 1-line block ×8, first 2 shown]
	v_mov_b32_e32 v109, v9
	v_mov_b32_e32 v108, v8
	;; [unrolled: 1-line block ×8, first 2 shown]
	s_waitcnt vmcnt(0)
	v_fma_f64 v[26:27], v[56:57], v[50:51], v[28:29]
	v_fma_f64 v[16:17], v[58:59], v[50:51], v[16:17]
	buffer_store_dword v26, off, s[36:39], 0 offset:1688 ; 4-byte Folded Spill
	buffer_store_dword v27, off, s[36:39], 0 offset:1692 ; 4-byte Folded Spill
	;; [unrolled: 1-line block ×4, first 2 shown]
	v_fma_f64 v[16:17], v[2:3], v[50:51], v[30:31]
	buffer_store_dword v16, off, s[36:39], 0 offset:1640 ; 4-byte Folded Spill
	buffer_store_dword v17, off, s[36:39], 0 offset:1644 ; 4-byte Folded Spill
	v_fma_f64 v[16:17], v[4:5], v[50:51], v[24:25]
	v_fma_f64 v[0:1], v[20:21], v[50:51], v[44:45]
	buffer_store_dword v16, off, s[36:39], 0 offset:1608 ; 4-byte Folded Spill
	buffer_store_dword v17, off, s[36:39], 0 offset:1612 ; 4-byte Folded Spill
	;; [unrolled: 1-line block ×4, first 2 shown]
	v_fma_f64 v[0:1], v[22:23], v[50:51], v[18:19]
	v_fma_f64 v[16:17], v[102:103], v[50:51], v[46:47]
	buffer_store_dword v0, off, s[36:39], 0 offset:1344 ; 4-byte Folded Spill
	buffer_store_dword v1, off, s[36:39], 0 offset:1348 ; 4-byte Folded Spill
	;; [unrolled: 1-line block ×4, first 2 shown]
	v_fma_f64 v[16:17], v[104:105], v[50:51], v[48:49]
	buffer_store_dword v16, off, s[36:39], 0 offset:1536 ; 4-byte Folded Spill
	buffer_store_dword v17, off, s[36:39], 0 offset:1540 ; 4-byte Folded Spill
	s_clause 0xb
	buffer_load_dword v84, off, s[36:39], 0 offset:880
	buffer_load_dword v85, off, s[36:39], 0 offset:884
	;; [unrolled: 1-line block ×12, first 2 shown]
	v_mov_b32_e32 v14, v40
	v_mov_b32_e32 v15, v41
	;; [unrolled: 1-line block ×4, first 2 shown]
	s_waitcnt vmcnt(10)
	v_fma_f64 v[44:45], v[36:37], v[84:85], 0
	s_waitcnt vmcnt(6)
	v_fma_f64 v[28:29], v[0:1], v[84:85], 0
	v_fma_f64 v[46:47], v[38:39], v[84:85], 0
	s_waitcnt vmcnt(4)
	v_fma_f64 v[30:31], v[2:3], v[84:85], 0
	s_clause 0x3
	buffer_load_dword v0, off, s[36:39], 0 offset:32
	buffer_load_dword v1, off, s[36:39], 0 offset:36
	;; [unrolled: 1-line block ×4, first 2 shown]
	v_fma_f64 v[18:19], v[52:53], v[84:85], 0
	v_fma_f64 v[24:25], v[54:55], v[84:85], 0
	s_waitcnt vmcnt(6)
	v_fma_f64 v[28:29], v[110:111], v[86:87], v[28:29]
	s_waitcnt vmcnt(4)
	v_fma_f64 v[30:31], v[112:113], v[86:87], v[30:31]
	v_fma_f64 v[18:19], v[80:81], v[86:87], v[18:19]
	;; [unrolled: 1-line block ×3, first 2 shown]
	s_waitcnt vmcnt(2)
	v_fma_f64 v[44:45], v[0:1], v[86:87], v[44:45]
	s_waitcnt vmcnt(0)
	v_fma_f64 v[46:47], v[2:3], v[86:87], v[46:47]
	s_clause 0x3
	buffer_load_dword v0, off, s[36:39], 0 offset:288
	buffer_load_dword v1, off, s[36:39], 0 offset:292
	;; [unrolled: 1-line block ×4, first 2 shown]
	s_waitcnt vmcnt(2)
	v_fma_f64 v[48:49], v[0:1], v[84:85], 0
	s_clause 0x5
	buffer_load_dword v52, off, s[36:39], 0 offset:864
	buffer_load_dword v53, off, s[36:39], 0 offset:868
	;; [unrolled: 1-line block ×6, first 2 shown]
	s_waitcnt vmcnt(6)
	v_fma_f64 v[50:51], v[2:3], v[84:85], 0
	v_fma_f64 v[48:49], v[68:69], v[86:87], v[48:49]
	;; [unrolled: 1-line block ×3, first 2 shown]
	v_mov_b32_e32 v68, v76
	v_mov_b32_e32 v69, v77
	;; [unrolled: 1-line block ×4, first 2 shown]
	s_waitcnt vmcnt(0)
	v_fma_f64 v[88:89], v[118:119], v[52:53], v[0:1]
	s_clause 0x1
	buffer_load_dword v0, off, s[36:39], 0 offset:448
	buffer_load_dword v1, off, s[36:39], 0 offset:452
	s_waitcnt vmcnt(0)
	v_fma_f64 v[32:33], v[120:121], v[52:53], v[0:1]
	s_clause 0x1
	buffer_load_dword v0, off, s[36:39], 0 offset:944
	buffer_load_dword v1, off, s[36:39], 0 offset:948
	;; [unrolled: 5-line block ×4, first 2 shown]
	buffer_load_dword v12, off, s[36:39], 0 offset:24
	buffer_load_dword v13, off, s[36:39], 0 offset:28
	;; [unrolled: 1-line block ×4, first 2 shown]
	s_waitcnt vmcnt(0)
	v_fma_f64 v[38:39], v[10:11], v[52:53], v[0:1]
	s_clause 0x1
	buffer_load_dword v0, off, s[36:39], 0 offset:992
	buffer_load_dword v1, off, s[36:39], 0 offset:996
	v_fma_f64 v[38:39], v[76:77], v[54:55], v[38:39]
	s_waitcnt vmcnt(0)
	v_fma_f64 v[40:41], v[12:13], v[52:53], v[0:1]
	s_clause 0x5
	buffer_load_dword v6, off, s[36:39], 0 offset:192
	buffer_load_dword v7, off, s[36:39], 0 offset:196
	;; [unrolled: 1-line block ×6, first 2 shown]
	v_fma_f64 v[40:41], v[78:79], v[54:55], v[40:41]
	s_waitcnt vmcnt(2)
	v_fma_f64 v[84:85], v[8:9], v[52:53], v[98:99]
	v_mov_b32_e32 v101, v9
	s_waitcnt vmcnt(0)
	v_fma_f64 v[42:43], v[6:7], v[52:53], v[0:1]
	v_mov_b32_e32 v100, v8
	v_mov_b32_e32 v99, v7
	;; [unrolled: 1-line block ×3, first 2 shown]
	s_clause 0x3
	buffer_load_dword v6, off, s[36:39], 0 offset:64
	buffer_load_dword v7, off, s[36:39], 0 offset:68
	;; [unrolled: 1-line block ×4, first 2 shown]
	v_fma_f64 v[84:85], v[62:63], v[54:55], v[84:85]
	v_fma_f64 v[42:43], v[60:61], v[54:55], v[42:43]
	s_waitcnt vmcnt(2)
	v_fma_f64 v[88:89], v[6:7], v[54:55], v[88:89]
	s_waitcnt vmcnt(0)
	v_mov_b32_e32 v83, v9
	v_fma_f64 v[32:33], v[8:9], v[54:55], v[32:33]
	v_mov_b32_e32 v82, v8
	v_mov_b32_e32 v81, v7
	;; [unrolled: 1-line block ×3, first 2 shown]
	s_clause 0x3
	buffer_load_dword v6, off, s[36:39], 0
	buffer_load_dword v7, off, s[36:39], 0 offset:4
	buffer_load_dword v8, off, s[36:39], 0 offset:8
	;; [unrolled: 1-line block ×3, first 2 shown]
	s_waitcnt vmcnt(2)
	v_fma_f64 v[34:35], v[6:7], v[54:55], v[34:35]
	s_waitcnt vmcnt(0)
	v_fma_f64 v[36:37], v[8:9], v[54:55], v[36:37]
	s_clause 0x3
	buffer_load_dword v52, off, s[36:39], 0 offset:464
	buffer_load_dword v53, off, s[36:39], 0 offset:468
	;; [unrolled: 1-line block ×4, first 2 shown]
	v_mov_b32_e32 v0, v6
	v_mov_b32_e32 v1, v7
	;; [unrolled: 1-line block ×4, first 2 shown]
	s_waitcnt vmcnt(2)
	v_fma_f64 v[18:19], v[118:119], v[52:53], v[18:19]
	v_fma_f64 v[24:25], v[120:121], v[52:53], v[24:25]
	;; [unrolled: 1-line block ×8, first 2 shown]
	s_waitcnt vmcnt(0)
	v_fma_f64 v[18:19], v[80:81], v[54:55], v[18:19]
	v_fma_f64 v[24:25], v[82:83], v[54:55], v[24:25]
	;; [unrolled: 1-line block ×8, first 2 shown]
	s_clause 0xf
	buffer_load_dword v52, off, s[36:39], 0 offset:480
	buffer_load_dword v53, off, s[36:39], 0 offset:484
	;; [unrolled: 1-line block ×16, first 2 shown]
	s_waitcnt vmcnt(14)
	v_fma_f64 v[42:43], v[72:73], v[52:53], v[42:43]
	s_waitcnt vmcnt(10)
	v_fma_f64 v[80:81], v[76:77], v[52:53], v[88:89]
	;; [unrolled: 2-line block ×3, first 2 shown]
	v_mov_b32_e32 v89, v79
	v_mov_b32_e32 v88, v78
	;; [unrolled: 1-line block ×4, first 2 shown]
	v_fma_f64 v[76:77], v[74:75], v[52:53], v[84:85]
	s_clause 0x3
	buffer_load_dword v82, off, s[36:39], 0 offset:352
	buffer_load_dword v83, off, s[36:39], 0 offset:356
	buffer_load_dword v84, off, s[36:39], 0 offset:360
	buffer_load_dword v85, off, s[36:39], 0 offset:364
	v_fma_f64 v[32:33], v[78:79], v[52:53], v[32:33]
	s_waitcnt vmcnt(8)
	v_fma_f64 v[36:37], v[2:3], v[52:53], v[36:37]
	s_waitcnt vmcnt(6)
	;; [unrolled: 2-line block ×3, first 2 shown]
	v_fma_f64 v[40:41], v[8:9], v[52:53], v[40:41]
	v_fma_f64 v[42:43], v[64:65], v[54:55], v[42:43]
	;; [unrolled: 1-line block ×7, first 2 shown]
	s_waitcnt vmcnt(2)
	v_fma_f64 v[34:35], v[82:83], v[54:55], v[34:35]
	s_waitcnt vmcnt(0)
	v_fma_f64 v[36:37], v[84:85], v[54:55], v[36:37]
	s_clause 0x3
	buffer_load_dword v52, off, s[36:39], 0 offset:928
	buffer_load_dword v53, off, s[36:39], 0 offset:932
	buffer_load_dword v54, off, s[36:39], 0 offset:936
	buffer_load_dword v55, off, s[36:39], 0 offset:940
	s_waitcnt vmcnt(2)
	v_fma_f64 v[18:19], v[86:87], v[52:53], v[18:19]
	v_fma_f64 v[24:25], v[88:89], v[52:53], v[24:25]
	;; [unrolled: 1-line block ×8, first 2 shown]
	s_waitcnt vmcnt(0)
	v_fma_f64 v[18:19], v[94:95], v[54:55], v[18:19]
	v_fma_f64 v[24:25], v[96:97], v[54:55], v[24:25]
	;; [unrolled: 1-line block ×8, first 2 shown]
	s_clause 0xb
	buffer_load_dword v52, off, s[36:39], 0 offset:400
	buffer_load_dword v53, off, s[36:39], 0 offset:404
	;; [unrolled: 1-line block ×12, first 2 shown]
	v_mov_b32_e32 v82, v106
	v_mov_b32_e32 v83, v107
	;; [unrolled: 1-line block ×8, first 2 shown]
	s_waitcnt vmcnt(10)
	v_fma_f64 v[34:35], v[122:123], v[52:53], v[34:35]
	v_fma_f64 v[36:37], v[124:125], v[52:53], v[36:37]
	;; [unrolled: 1-line block ×4, first 2 shown]
	s_waitcnt vmcnt(6)
	v_fma_f64 v[28:29], v[64:65], v[52:53], v[80:81]
	s_waitcnt vmcnt(2)
	v_fma_f64 v[42:43], v[6:7], v[52:53], v[42:43]
	v_fma_f64 v[32:33], v[66:67], v[52:53], v[32:33]
	s_waitcnt vmcnt(0)
	v_fma_f64 v[74:75], v[8:9], v[52:53], v[76:77]
	v_fma_f64 v[0:1], v[56:57], v[54:55], v[28:29]
	buffer_store_dword v0, off, s[36:39], 0 offset:1480 ; 4-byte Folded Spill
	buffer_store_dword v1, off, s[36:39], 0 offset:1484 ; 4-byte Folded Spill
	v_fma_f64 v[0:1], v[58:59], v[54:55], v[32:33]
	buffer_store_dword v0, off, s[36:39], 0 offset:1456 ; 4-byte Folded Spill
	buffer_store_dword v1, off, s[36:39], 0 offset:1460 ; 4-byte Folded Spill
	s_clause 0x3
	buffer_load_dword v2, off, s[36:39], 0 offset:112
	buffer_load_dword v3, off, s[36:39], 0 offset:116
	;; [unrolled: 1-line block ×4, first 2 shown]
	s_waitcnt vmcnt(2)
	v_fma_f64 v[0:1], v[2:3], v[54:55], v[34:35]
	buffer_store_dword v0, off, s[36:39], 0 offset:1432 ; 4-byte Folded Spill
	buffer_store_dword v1, off, s[36:39], 0 offset:1436 ; 4-byte Folded Spill
	s_waitcnt vmcnt(0)
	v_fma_f64 v[0:1], v[4:5], v[54:55], v[36:37]
	buffer_store_dword v0, off, s[36:39], 0 offset:1416 ; 4-byte Folded Spill
	buffer_store_dword v1, off, s[36:39], 0 offset:1420 ; 4-byte Folded Spill
	v_fma_f64 v[0:1], v[20:21], v[54:55], v[38:39]
	buffer_store_dword v0, off, s[36:39], 0 offset:1384 ; 4-byte Folded Spill
	buffer_store_dword v1, off, s[36:39], 0 offset:1388 ; 4-byte Folded Spill
	;; [unrolled: 3-line block ×5, first 2 shown]
	s_clause 0x3
	buffer_load_dword v52, off, s[36:39], 0 offset:816
	buffer_load_dword v53, off, s[36:39], 0 offset:820
	;; [unrolled: 1-line block ×4, first 2 shown]
	s_waitcnt vmcnt(2)
	v_fma_f64 v[18:19], v[64:65], v[52:53], v[18:19]
	v_fma_f64 v[24:25], v[66:67], v[52:53], v[24:25]
	;; [unrolled: 1-line block ×8, first 2 shown]
	s_waitcnt vmcnt(0)
	v_fma_f64 v[0:1], v[106:107], v[54:55], v[18:19]
	buffer_store_dword v0, off, s[36:39], 0 offset:1488 ; 4-byte Folded Spill
	buffer_store_dword v1, off, s[36:39], 0 offset:1492 ; 4-byte Folded Spill
	v_fma_f64 v[0:1], v[108:109], v[54:55], v[24:25]
	buffer_store_dword v0, off, s[36:39], 0 offset:1672 ; 4-byte Folded Spill
	buffer_store_dword v1, off, s[36:39], 0 offset:1676 ; 4-byte Folded Spill
	;; [unrolled: 3-line block ×8, first 2 shown]
	s_clause 0xf
	buffer_load_dword v42, off, s[36:39], 0 offset:848
	buffer_load_dword v43, off, s[36:39], 0 offset:852
	;; [unrolled: 1-line block ×16, first 2 shown]
	s_waitcnt vmcnt(10)
	v_fma_f64 v[18:19], v[0:1], v[42:43], 0
	s_waitcnt vmcnt(2)
	v_fma_f64 v[32:33], v[10:11], v[42:43], 0
	v_mov_b32_e32 v81, v3
	s_waitcnt vmcnt(0)
	v_mov_b32_e32 v29, v13
	v_fma_f64 v[34:35], v[12:13], v[42:43], 0
	v_mov_b32_e32 v28, v12
	v_mov_b32_e32 v27, v11
	;; [unrolled: 1-line block ×3, first 2 shown]
	s_clause 0x7
	buffer_load_dword v10, off, s[36:39], 0 offset:304
	buffer_load_dword v11, off, s[36:39], 0 offset:308
	;; [unrolled: 1-line block ×8, first 2 shown]
	v_fma_f64 v[24:25], v[2:3], v[42:43], 0
	v_mov_b32_e32 v80, v2
	v_mov_b32_e32 v79, v1
	;; [unrolled: 1-line block ×3, first 2 shown]
	v_fma_f64 v[18:19], v[20:21], v[44:45], v[18:19]
	v_fma_f64 v[32:33], v[110:111], v[44:45], v[32:33]
	;; [unrolled: 1-line block ×4, first 2 shown]
	s_waitcnt vmcnt(6)
	v_fma_f64 v[36:37], v[10:11], v[42:43], 0
	s_waitcnt vmcnt(4)
	v_mov_b32_e32 v59, v13
	s_waitcnt vmcnt(0)
	v_mov_b32_e32 v0, v14
	v_fma_f64 v[38:39], v[12:13], v[42:43], 0
	v_mov_b32_e32 v58, v12
	v_mov_b32_e32 v57, v11
	;; [unrolled: 1-line block ×6, first 2 shown]
	v_fma_f64 v[36:37], v[14:15], v[44:45], v[36:37]
	s_clause 0x7
	buffer_load_dword v12, off, s[36:39], 0 offset:288
	buffer_load_dword v13, off, s[36:39], 0 offset:292
	;; [unrolled: 1-line block ×8, first 2 shown]
	v_fma_f64 v[38:39], v[16:17], v[44:45], v[38:39]
	s_waitcnt vmcnt(6)
	v_fma_f64 v[40:41], v[12:13], v[42:43], 0
	s_waitcnt vmcnt(2)
	v_fma_f64 v[46:47], v[80:81], v[52:53], 0
	v_fma_f64 v[42:43], v[14:15], v[42:43], 0
	;; [unrolled: 1-line block ×9, first 2 shown]
	s_waitcnt vmcnt(0)
	v_fma_f64 v[46:47], v[22:23], v[54:55], v[46:47]
	v_fma_f64 v[42:43], v[116:117], v[44:45], v[42:43]
	;; [unrolled: 1-line block ×9, first 2 shown]
	v_mov_b32_e32 v58, v98
	v_mov_b32_e32 v59, v99
	;; [unrolled: 1-line block ×8, first 2 shown]
	v_fma_f64 v[44:45], v[20:21], v[54:55], v[44:45]
	s_clause 0x7
	buffer_load_dword v52, off, s[36:39], 0 offset:752
	buffer_load_dword v53, off, s[36:39], 0 offset:756
	;; [unrolled: 1-line block ×8, first 2 shown]
	s_waitcnt vmcnt(6)
	v_fma_f64 v[18:19], v[118:119], v[52:53], v[18:19]
	s_waitcnt vmcnt(2)
	v_fma_f64 v[32:33], v[14:15], v[52:53], v[32:33]
	v_fma_f64 v[24:25], v[120:121], v[52:53], v[24:25]
	s_waitcnt vmcnt(0)
	v_mov_b32_e32 v29, v17
	v_fma_f64 v[34:35], v[16:17], v[52:53], v[34:35]
	v_mov_b32_e32 v28, v16
	v_mov_b32_e32 v27, v15
	;; [unrolled: 1-line block ×3, first 2 shown]
	s_clause 0x3
	buffer_load_dword v14, off, s[36:39], 0 offset:16
	buffer_load_dword v15, off, s[36:39], 0 offset:20
	;; [unrolled: 1-line block ×4, first 2 shown]
	v_fma_f64 v[40:41], v[58:59], v[52:53], v[40:41]
	v_fma_f64 v[42:43], v[60:61], v[52:53], v[42:43]
	s_waitcnt vmcnt(2)
	v_fma_f64 v[36:37], v[14:15], v[52:53], v[36:37]
	s_waitcnt vmcnt(0)
	v_mov_b32_e32 v75, v17
	v_fma_f64 v[38:39], v[16:17], v[52:53], v[38:39]
	v_mov_b32_e32 v74, v16
	v_mov_b32_e32 v73, v15
	;; [unrolled: 1-line block ×3, first 2 shown]
	s_clause 0x7
	buffer_load_dword v14, off, s[36:39], 0 offset:64
	buffer_load_dword v15, off, s[36:39], 0 offset:68
	buffer_load_dword v16, off, s[36:39], 0 offset:72
	buffer_load_dword v17, off, s[36:39], 0 offset:76
	buffer_load_dword v10, off, s[36:39], 0
	buffer_load_dword v11, off, s[36:39], 0 offset:4
	buffer_load_dword v12, off, s[36:39], 0 offset:8
	;; [unrolled: 1-line block ×3, first 2 shown]
	v_fma_f64 v[36:37], v[98:99], v[54:55], v[36:37]
	v_fma_f64 v[38:39], v[100:101], v[54:55], v[38:39]
	s_waitcnt vmcnt(6)
	v_fma_f64 v[18:19], v[14:15], v[54:55], v[18:19]
	s_waitcnt vmcnt(2)
	v_fma_f64 v[32:33], v[10:11], v[54:55], v[32:33]
	v_fma_f64 v[24:25], v[16:17], v[54:55], v[24:25]
	s_waitcnt vmcnt(0)
	v_mov_b32_e32 v0, v10
	v_fma_f64 v[34:35], v[12:13], v[54:55], v[34:35]
	v_mov_b32_e32 v1, v11
	v_mov_b32_e32 v2, v12
	;; [unrolled: 1-line block ×3, first 2 shown]
	s_clause 0x7
	buffer_load_dword v10, off, s[36:39], 0 offset:80
	buffer_load_dword v11, off, s[36:39], 0 offset:84
	;; [unrolled: 1-line block ×8, first 2 shown]
	s_waitcnt vmcnt(6)
	v_fma_f64 v[40:41], v[10:11], v[54:55], v[40:41]
	s_waitcnt vmcnt(2)
	v_fma_f64 v[56:57], v[60:61], v[68:69], v[56:57]
	v_fma_f64 v[42:43], v[12:13], v[54:55], v[42:43]
	;; [unrolled: 1-line block ×3, first 2 shown]
	s_clause 0x3
	buffer_load_dword v60, off, s[36:39], 0 offset:608
	buffer_load_dword v61, off, s[36:39], 0 offset:612
	;; [unrolled: 1-line block ×4, first 2 shown]
	v_fma_f64 v[58:59], v[58:59], v[68:69], v[66:67]
	v_fma_f64 v[44:45], v[118:119], v[68:69], v[44:45]
	;; [unrolled: 1-line block ×6, first 2 shown]
	v_mov_b32_e32 v66, v86
	v_mov_b32_e32 v67, v87
	;; [unrolled: 1-line block ×4, first 2 shown]
	s_waitcnt vmcnt(4)
	v_fma_f64 v[56:57], v[12:13], v[70:71], v[56:57]
	v_fma_f64 v[54:55], v[100:101], v[70:71], v[54:55]
	;; [unrolled: 1-line block ×3, first 2 shown]
	v_mov_b32_e32 v10, v86
	v_mov_b32_e32 v11, v87
	;; [unrolled: 1-line block ×4, first 2 shown]
	v_fma_f64 v[44:45], v[14:15], v[70:71], v[44:45]
	v_fma_f64 v[46:47], v[16:17], v[70:71], v[46:47]
	v_fma_f64 v[48:49], v[0:1], v[70:71], v[48:49]
	v_fma_f64 v[50:51], v[2:3], v[70:71], v[50:51]
	v_fma_f64 v[52:53], v[98:99], v[70:71], v[52:53]
	s_waitcnt vmcnt(2)
	v_fma_f64 v[18:19], v[10:11], v[60:61], v[18:19]
	v_fma_f64 v[24:25], v[12:13], v[60:61], v[24:25]
	s_clause 0x7
	buffer_load_dword v10, off, s[36:39], 0 offset:96
	buffer_load_dword v11, off, s[36:39], 0 offset:100
	;; [unrolled: 1-line block ×8, first 2 shown]
	s_waitcnt vmcnt(8)
	v_fma_f64 v[18:19], v[94:95], v[62:63], v[18:19]
	v_fma_f64 v[24:25], v[96:97], v[62:63], v[24:25]
	s_waitcnt vmcnt(6)
	v_fma_f64 v[32:33], v[10:11], v[60:61], v[32:33]
	s_waitcnt vmcnt(2)
	v_fma_f64 v[36:37], v[86:87], v[60:61], v[36:37]
	v_mov_b32_e32 v73, v13
	v_fma_f64 v[34:35], v[12:13], v[60:61], v[34:35]
	v_mov_b32_e32 v72, v12
	v_mov_b32_e32 v71, v11
	;; [unrolled: 1-line block ×3, first 2 shown]
	s_clause 0x7
	buffer_load_dword v10, off, s[36:39], 0 offset:128
	buffer_load_dword v11, off, s[36:39], 0 offset:132
	;; [unrolled: 1-line block ×8, first 2 shown]
	s_waitcnt vmcnt(8)
	v_fma_f64 v[38:39], v[88:89], v[60:61], v[38:39]
	v_fma_f64 v[36:37], v[90:91], v[62:63], v[36:37]
	;; [unrolled: 1-line block ×3, first 2 shown]
	s_waitcnt vmcnt(6)
	v_fma_f64 v[40:41], v[10:11], v[60:61], v[40:41]
	s_waitcnt vmcnt(2)
	v_fma_f64 v[32:33], v[28:29], v[62:63], v[32:33]
	v_mov_b32_e32 v0, v10
	v_fma_f64 v[42:43], v[12:13], v[60:61], v[42:43]
	v_mov_b32_e32 v1, v11
	v_mov_b32_e32 v2, v12
	v_mov_b32_e32 v3, v13
	s_clause 0x3
	buffer_load_dword v10, off, s[36:39], 0 offset:320
	buffer_load_dword v11, off, s[36:39], 0 offset:324
	;; [unrolled: 1-line block ×4, first 2 shown]
	s_waitcnt vmcnt(4)
	v_fma_f64 v[34:35], v[30:31], v[62:63], v[34:35]
	s_waitcnt vmcnt(2)
	v_fma_f64 v[40:41], v[10:11], v[62:63], v[40:41]
	;; [unrolled: 2-line block ×3, first 2 shown]
	s_clause 0x3
	buffer_load_dword v62, off, s[36:39], 0 offset:592
	buffer_load_dword v63, off, s[36:39], 0 offset:596
	;; [unrolled: 1-line block ×4, first 2 shown]
	s_waitcnt vmcnt(2)
	v_fma_f64 v[58:59], v[0:1], v[62:63], v[58:59]
	v_fma_f64 v[56:57], v[2:3], v[62:63], v[56:57]
	;; [unrolled: 1-line block ×8, first 2 shown]
	s_waitcnt vmcnt(0)
	v_fma_f64 v[58:59], v[10:11], v[64:65], v[58:59]
	v_fma_f64 v[66:67], v[12:13], v[64:65], v[56:57]
	s_clause 0x7
	buffer_load_dword v72, off, s[36:39], 0 offset:832
	buffer_load_dword v73, off, s[36:39], 0 offset:836
	;; [unrolled: 1-line block ×8, first 2 shown]
	v_fma_f64 v[60:61], v[94:95], v[64:65], v[44:45]
	v_fma_f64 v[62:63], v[28:29], v[64:65], v[48:49]
	;; [unrolled: 1-line block ×6, first 2 shown]
	s_waitcnt vmcnt(6)
	v_fma_f64 v[32:33], v[122:123], v[72:73], v[32:33]
	v_fma_f64 v[34:35], v[124:125], v[72:73], v[34:35]
	;; [unrolled: 1-line block ×4, first 2 shown]
	s_waitcnt vmcnt(2)
	v_fma_f64 v[18:19], v[10:11], v[72:73], v[18:19]
	v_fma_f64 v[40:41], v[6:7], v[72:73], v[40:41]
	s_waitcnt vmcnt(0)
	v_fma_f64 v[24:25], v[12:13], v[72:73], v[24:25]
	v_fma_f64 v[42:43], v[8:9], v[72:73], v[42:43]
	;; [unrolled: 1-line block ×3, first 2 shown]
	buffer_store_dword v4, off, s[36:39], 0 offset:1696 ; 4-byte Folded Spill
	buffer_store_dword v5, off, s[36:39], 0 offset:1700 ; 4-byte Folded Spill
	v_fma_f64 v[4:5], v[108:109], v[74:75], v[24:25]
	buffer_store_dword v4, off, s[36:39], 0 offset:1680 ; 4-byte Folded Spill
	buffer_store_dword v5, off, s[36:39], 0 offset:1684 ; 4-byte Folded Spill
	s_clause 0x3
	buffer_load_dword v0, off, s[36:39], 0 offset:112
	buffer_load_dword v1, off, s[36:39], 0 offset:116
	;; [unrolled: 1-line block ×4, first 2 shown]
	v_fma_f64 v[56:57], v[104:105], v[74:75], v[42:43]
	s_waitcnt vmcnt(2)
	v_fma_f64 v[4:5], v[0:1], v[74:75], v[32:33]
	buffer_store_dword v4, off, s[36:39], 0 offset:1648 ; 4-byte Folded Spill
	buffer_store_dword v5, off, s[36:39], 0 offset:1652 ; 4-byte Folded Spill
	s_waitcnt vmcnt(0)
	v_fma_f64 v[4:5], v[2:3], v[74:75], v[34:35]
	buffer_store_dword v4, off, s[36:39], 0 offset:1624 ; 4-byte Folded Spill
	buffer_store_dword v5, off, s[36:39], 0 offset:1628 ; 4-byte Folded Spill
	s_clause 0x3
	buffer_load_dword v24, off, s[36:39], 0 offset:240
	buffer_load_dword v25, off, s[36:39], 0 offset:244
	;; [unrolled: 1-line block ×4, first 2 shown]
	s_waitcnt vmcnt(2)
	v_fma_f64 v[4:5], v[24:25], v[74:75], v[70:71]
	buffer_store_dword v4, off, s[36:39], 0 offset:1600 ; 4-byte Folded Spill
	buffer_store_dword v5, off, s[36:39], 0 offset:1604 ; 4-byte Folded Spill
	s_waitcnt vmcnt(0)
	v_fma_f64 v[4:5], v[26:27], v[74:75], v[38:39]
	buffer_store_dword v4, off, s[36:39], 0 offset:1576 ; 4-byte Folded Spill
	buffer_store_dword v5, off, s[36:39], 0 offset:1580 ; 4-byte Folded Spill
	v_fma_f64 v[4:5], v[102:103], v[74:75], v[40:41]
	buffer_store_dword v4, off, s[36:39], 0 offset:1552 ; 4-byte Folded Spill
	buffer_store_dword v5, off, s[36:39], 0 offset:1556 ; 4-byte Folded Spill
	s_clause 0x3
	buffer_load_dword v36, off, s[36:39], 0 offset:912
	buffer_load_dword v37, off, s[36:39], 0 offset:916
	;; [unrolled: 1-line block ×4, first 2 shown]
	v_mov_b32_e32 v71, v27
	v_mov_b32_e32 v70, v26
	;; [unrolled: 1-line block ×4, first 2 shown]
	s_waitcnt vmcnt(2)
	v_fma_f64 v[18:19], v[10:11], v[36:37], v[60:61]
	v_fma_f64 v[24:25], v[12:13], v[36:37], v[46:47]
	;; [unrolled: 1-line block ×8, first 2 shown]
	v_mov_b32_e32 v83, v57
	v_mov_b32_e32 v82, v56
	s_waitcnt vmcnt(0)
	v_fma_f64 v[4:5], v[106:107], v[38:39], v[18:19]
	buffer_store_dword v4, off, s[36:39], 0 offset:1704 ; 4-byte Folded Spill
	buffer_store_dword v5, off, s[36:39], 0 offset:1708 ; 4-byte Folded Spill
	v_fma_f64 v[4:5], v[108:109], v[38:39], v[24:25]
	buffer_store_dword v4, off, s[36:39], 0 offset:1464 ; 4-byte Folded Spill
	buffer_store_dword v5, off, s[36:39], 0 offset:1468 ; 4-byte Folded Spill
	;; [unrolled: 3-line block ×3, first 2 shown]
	v_fma_f64 v[4:5], v[2:3], v[38:39], v[34:35]
	v_mov_b32_e32 v0, v68
	v_mov_b32_e32 v1, v69
	buffer_store_dword v4, off, s[36:39], 0 offset:1632 ; 4-byte Folded Spill
	buffer_store_dword v5, off, s[36:39], 0 offset:1636 ; 4-byte Folded Spill
	v_fma_f64 v[4:5], v[0:1], v[38:39], v[40:41]
	v_mov_b32_e32 v2, v70
	v_mov_b32_e32 v3, v71
	buffer_store_dword v4, off, s[36:39], 0 offset:1400 ; 4-byte Folded Spill
	buffer_store_dword v5, off, s[36:39], 0 offset:1404 ; 4-byte Folded Spill
	v_fma_f64 v[126:127], v[2:3], v[38:39], v[42:43]
	v_fma_f64 v[68:69], v[102:103], v[38:39], v[46:47]
	;; [unrolled: 1-line block ×3, first 2 shown]
	s_clause 0x7
	buffer_load_dword v24, off, s[36:39], 0 offset:560
	buffer_load_dword v25, off, s[36:39], 0 offset:564
	;; [unrolled: 1-line block ×8, first 2 shown]
	v_mov_b32_e32 v4, v86
	v_mov_b32_e32 v5, v87
	;; [unrolled: 1-line block ×4, first 2 shown]
	s_waitcnt vmcnt(6)
	v_fma_f64 v[32:33], v[80:81], v[24:25], 0
	s_waitcnt vmcnt(2)
	v_fma_f64 v[34:35], v[36:37], v[24:25], 0
	v_fma_f64 v[18:19], v[78:79], v[24:25], 0
	s_waitcnt vmcnt(0)
	v_fma_f64 v[40:41], v[38:39], v[24:25], 0
	v_fma_f64 v[48:49], v[22:23], v[26:27], v[32:33]
	;; [unrolled: 1-line block ×3, first 2 shown]
	v_mov_b32_e32 v32, v36
	v_mov_b32_e32 v33, v37
	;; [unrolled: 1-line block ×4, first 2 shown]
	s_clause 0x7
	buffer_load_dword v36, off, s[36:39], 0 offset:304
	buffer_load_dword v37, off, s[36:39], 0 offset:308
	;; [unrolled: 1-line block ×8, first 2 shown]
	v_fma_f64 v[44:45], v[20:21], v[26:27], v[18:19]
	v_fma_f64 v[40:41], v[112:113], v[26:27], v[40:41]
	s_waitcnt vmcnt(6)
	v_fma_f64 v[42:43], v[36:37], v[24:25], 0
	s_waitcnt vmcnt(4)
	v_mov_b32_e32 v73, v39
	v_fma_f64 v[46:47], v[38:39], v[24:25], 0
	v_mov_b32_e32 v72, v38
	v_mov_b32_e32 v71, v37
	;; [unrolled: 1-line block ×3, first 2 shown]
	s_clause 0x3
	buffer_load_dword v36, off, s[36:39], 0 offset:288
	buffer_load_dword v37, off, s[36:39], 0 offset:292
	;; [unrolled: 1-line block ×4, first 2 shown]
	s_waitcnt vmcnt(6)
	v_fma_f64 v[42:43], v[10:11], v[26:27], v[42:43]
	s_waitcnt vmcnt(4)
	v_fma_f64 v[46:47], v[12:13], v[26:27], v[46:47]
	;; [unrolled: 2-line block ×3, first 2 shown]
	s_waitcnt vmcnt(0)
	v_mov_b32_e32 v77, v39
	v_fma_f64 v[52:53], v[38:39], v[24:25], 0
	v_mov_b32_e32 v76, v38
	v_mov_b32_e32 v75, v37
	v_mov_b32_e32 v74, v36
	s_clause 0x3
	buffer_load_dword v36, off, s[36:39], 0 offset:544
	buffer_load_dword v37, off, s[36:39], 0 offset:548
	;; [unrolled: 1-line block ×4, first 2 shown]
	v_fma_f64 v[50:51], v[114:115], v[26:27], v[50:51]
	v_fma_f64 v[52:53], v[116:117], v[26:27], v[52:53]
	v_mov_b32_e32 v24, v110
	v_mov_b32_e32 v25, v111
	;; [unrolled: 1-line block ×4, first 2 shown]
	s_waitcnt vmcnt(2)
	v_fma_f64 v[70:71], v[70:71], v[36:37], 0
	v_fma_f64 v[54:55], v[78:79], v[36:37], 0
	;; [unrolled: 1-line block ×8, first 2 shown]
	s_clause 0x7
	buffer_load_dword v32, off, s[36:39], 0 offset:208
	buffer_load_dword v33, off, s[36:39], 0 offset:212
	;; [unrolled: 1-line block ×8, first 2 shown]
	s_waitcnt vmcnt(8)
	v_fma_f64 v[70:71], v[10:11], v[38:39], v[70:71]
	v_mov_b32_e32 v8, v28
	v_mov_b32_e32 v9, v29
	;; [unrolled: 1-line block ×4, first 2 shown]
	s_clause 0x3
	buffer_load_dword v28, off, s[36:39], 0 offset:16
	buffer_load_dword v29, off, s[36:39], 0 offset:20
	;; [unrolled: 1-line block ×4, first 2 shown]
	v_fma_f64 v[54:55], v[20:21], v[38:39], v[54:55]
	v_fma_f64 v[58:59], v[22:23], v[38:39], v[58:59]
	;; [unrolled: 1-line block ×6, first 2 shown]
	s_clause 0x5
	buffer_load_dword v78, off, s[36:39], 0
	buffer_load_dword v79, off, s[36:39], 0 offset:4
	buffer_load_dword v80, off, s[36:39], 0 offset:8
	;; [unrolled: 1-line block ×5, first 2 shown]
	v_fma_f64 v[76:77], v[116:117], v[38:39], v[76:77]
	s_clause 0x7
	buffer_load_dword v36, off, s[36:39], 0 offset:272
	buffer_load_dword v37, off, s[36:39], 0 offset:276
	;; [unrolled: 1-line block ×8, first 2 shown]
	v_mov_b32_e32 v23, v17
	v_mov_b32_e32 v22, v16
	;; [unrolled: 1-line block ×8, first 2 shown]
	s_waitcnt vmcnt(6)
	v_fma_f64 v[18:19], v[118:119], v[36:37], v[44:45]
	v_fma_f64 v[16:17], v[120:121], v[36:37], v[48:49]
	;; [unrolled: 1-line block ×8, first 2 shown]
	s_waitcnt vmcnt(4)
	v_fma_f64 v[18:19], v[20:21], v[38:39], v[18:19]
	v_fma_f64 v[16:17], v[22:23], v[38:39], v[16:17]
	;; [unrolled: 1-line block ×6, first 2 shown]
	s_waitcnt vmcnt(2)
	v_fma_f64 v[50:51], v[84:85], v[38:39], v[50:51]
	s_waitcnt vmcnt(0)
	v_fma_f64 v[52:53], v[86:87], v[38:39], v[52:53]
	s_clause 0x7
	buffer_load_dword v36, off, s[36:39], 0 offset:528
	buffer_load_dword v37, off, s[36:39], 0 offset:532
	;; [unrolled: 1-line block ×8, first 2 shown]
	s_waitcnt vmcnt(6)
	v_fma_f64 v[54:55], v[118:119], v[36:37], v[54:55]
	v_fma_f64 v[58:59], v[120:121], v[36:37], v[58:59]
	;; [unrolled: 1-line block ×8, first 2 shown]
	v_mov_b32_e32 v32, v84
	v_mov_b32_e32 v33, v85
	;; [unrolled: 1-line block ×10, first 2 shown]
	s_waitcnt vmcnt(4)
	v_fma_f64 v[54:55], v[20:21], v[38:39], v[54:55]
	v_fma_f64 v[58:59], v[22:23], v[38:39], v[58:59]
	v_fma_f64 v[62:63], v[78:79], v[38:39], v[62:63]
	s_clause 0x1
	buffer_load_dword v78, off, s[36:39], 0 offset:1456
	buffer_load_dword v79, off, s[36:39], 0 offset:1460
	v_fma_f64 v[66:67], v[80:81], v[38:39], v[66:67]
	s_clause 0x1
	buffer_load_dword v80, off, s[36:39], 0 offset:1432
	buffer_load_dword v81, off, s[36:39], 0 offset:1436
	v_fma_f64 v[70:71], v[98:99], v[38:39], v[70:71]
	v_fma_f64 v[72:73], v[100:101], v[38:39], v[72:73]
	;; [unrolled: 1-line block ×4, first 2 shown]
	s_clause 0x7
	buffer_load_dword v36, off, s[36:39], 0 offset:512
	buffer_load_dword v37, off, s[36:39], 0 offset:516
	;; [unrolled: 1-line block ×8, first 2 shown]
	s_waitcnt vmcnt(6)
	v_fma_f64 v[42:43], v[4:5], v[36:37], v[42:43]
	v_fma_f64 v[46:47], v[6:7], v[36:37], v[46:47]
	s_waitcnt vmcnt(2)
	v_fma_f64 v[18:19], v[0:1], v[36:37], v[18:19]
	s_waitcnt vmcnt(0)
	v_mov_b32_e32 v111, v3
	v_fma_f64 v[32:33], v[2:3], v[36:37], v[16:17]
	v_mov_b32_e32 v110, v2
	v_mov_b32_e32 v109, v1
	;; [unrolled: 1-line block ×3, first 2 shown]
	s_clause 0x3
	buffer_load_dword v0, off, s[36:39], 0 offset:96
	buffer_load_dword v1, off, s[36:39], 0 offset:100
	;; [unrolled: 1-line block ×4, first 2 shown]
	v_fma_f64 v[42:43], v[90:91], v[38:39], v[42:43]
	v_fma_f64 v[46:47], v[92:93], v[38:39], v[46:47]
	;; [unrolled: 1-line block ×4, first 2 shown]
	s_waitcnt vmcnt(2)
	v_fma_f64 v[34:35], v[0:1], v[36:37], v[44:45]
	s_waitcnt vmcnt(0)
	v_mov_b32_e32 v87, v3
	v_fma_f64 v[40:41], v[2:3], v[36:37], v[40:41]
	v_mov_b32_e32 v86, v2
	v_mov_b32_e32 v85, v1
	;; [unrolled: 1-line block ×3, first 2 shown]
	s_clause 0x7
	buffer_load_dword v0, off, s[36:39], 0 offset:128
	buffer_load_dword v1, off, s[36:39], 0 offset:132
	;; [unrolled: 1-line block ×8, first 2 shown]
	v_fma_f64 v[34:35], v[8:9], v[38:39], v[34:35]
	v_fma_f64 v[40:41], v[10:11], v[38:39], v[40:41]
	s_waitcnt vmcnt(6)
	v_fma_f64 v[50:51], v[0:1], v[36:37], v[50:51]
	s_waitcnt vmcnt(4)
	;; [unrolled: 2-line block ×4, first 2 shown]
	v_fma_f64 v[52:53], v[116:117], v[38:39], v[52:53]
	s_clause 0x3
	buffer_load_dword v36, off, s[36:39], 0 offset:496
	buffer_load_dword v37, off, s[36:39], 0 offset:500
	;; [unrolled: 1-line block ×4, first 2 shown]
	s_waitcnt vmcnt(2)
	v_fma_f64 v[54:55], v[108:109], v[36:37], v[54:55]
	v_fma_f64 v[58:59], v[110:111], v[36:37], v[58:59]
	;; [unrolled: 1-line block ×8, first 2 shown]
	v_mov_b32_e32 v111, v11
	v_mov_b32_e32 v110, v10
	;; [unrolled: 1-line block ×4, first 2 shown]
	s_waitcnt vmcnt(0)
	v_fma_f64 v[54:55], v[94:95], v[38:39], v[54:55]
	v_fma_f64 v[58:59], v[96:97], v[38:39], v[58:59]
	s_clause 0x3
	buffer_load_dword v94, off, s[36:39], 0 offset:672
	buffer_load_dword v95, off, s[36:39], 0 offset:676
	;; [unrolled: 1-line block ×4, first 2 shown]
	v_fma_f64 v[62:63], v[8:9], v[38:39], v[62:63]
	v_fma_f64 v[66:67], v[10:11], v[38:39], v[66:67]
	;; [unrolled: 1-line block ×5, first 2 shown]
	s_clause 0x1
	buffer_load_dword v8, off, s[36:39], 0 offset:1336
	buffer_load_dword v9, off, s[36:39], 0 offset:1340
	v_fma_f64 v[76:77], v[116:117], v[38:39], v[76:77]
	s_clause 0x17
	buffer_load_dword v38, off, s[36:39], 0 offset:1368
	buffer_load_dword v39, off, s[36:39], 0 offset:1372
	;; [unrolled: 1-line block ×24, first 2 shown]
	s_waitcnt vmcnt(10)
	v_fma_f64 v[34:35], v[122:123], v[0:1], v[34:35]
	v_fma_f64 v[42:43], v[94:95], v[0:1], v[42:43]
	;; [unrolled: 1-line block ×3, first 2 shown]
	s_waitcnt vmcnt(6)
	v_fma_f64 v[18:19], v[84:85], v[0:1], v[18:19]
	s_waitcnt vmcnt(4)
	v_mov_b32_e32 v91, v87
	v_mov_b32_e32 v90, v86
	;; [unrolled: 1-line block ×4, first 2 shown]
	v_fma_f64 v[84:85], v[124:125], v[0:1], v[40:41]
	v_fma_f64 v[32:33], v[86:87], v[0:1], v[32:33]
	s_waitcnt vmcnt(2)
	v_fma_f64 v[86:87], v[20:21], v[0:1], v[50:51]
	s_waitcnt vmcnt(0)
	v_mov_b32_e32 v51, v23
	v_mov_b32_e32 v50, v22
	;; [unrolled: 1-line block ×4, first 2 shown]
	v_fma_f64 v[52:53], v[50:51], v[0:1], v[52:53]
	v_fma_f64 v[44:45], v[12:13], v[2:3], v[18:19]
	s_clause 0x3
	buffer_load_dword v16, off, s[36:39], 0 offset:112
	buffer_load_dword v17, off, s[36:39], 0 offset:116
	;; [unrolled: 1-line block ×4, first 2 shown]
	v_fma_f64 v[64:65], v[14:15], v[2:3], v[32:33]
	v_fma_f64 v[32:33], v[102:103], v[2:3], v[86:87]
	s_waitcnt vmcnt(2)
	v_fma_f64 v[118:119], v[16:17], v[2:3], v[34:35]
	s_waitcnt vmcnt(0)
	v_mov_b32_e32 v101, v19
	v_fma_f64 v[116:117], v[18:19], v[2:3], v[84:85]
	v_mov_b32_e32 v100, v18
	v_mov_b32_e32 v99, v17
	;; [unrolled: 1-line block ×3, first 2 shown]
	s_clause 0x3
	buffer_load_dword v16, off, s[36:39], 0 offset:240
	buffer_load_dword v17, off, s[36:39], 0 offset:244
	buffer_load_dword v18, off, s[36:39], 0 offset:248
	buffer_load_dword v19, off, s[36:39], 0 offset:252
	v_mov_b32_e32 v85, v9
	v_mov_b32_e32 v84, v8
	s_waitcnt vmcnt(2)
	v_fma_f64 v[92:93], v[16:17], v[2:3], v[42:43]
	s_clause 0x1
	buffer_load_dword v42, off, s[36:39], 0 offset:1408
	buffer_load_dword v43, off, s[36:39], 0 offset:1412
	s_waitcnt vmcnt(2)
	v_mov_b32_e32 v23, v19
	v_fma_f64 v[40:41], v[18:19], v[2:3], v[46:47]
	v_mov_b32_e32 v22, v18
	v_mov_b32_e32 v21, v17
	;; [unrolled: 1-line block ×3, first 2 shown]
	v_fma_f64 v[16:17], v[104:105], v[2:3], v[52:53]
	s_clause 0x3
	buffer_load_dword v0, off, s[36:39], 0 offset:896
	buffer_load_dword v1, off, s[36:39], 0 offset:900
	;; [unrolled: 1-line block ×4, first 2 shown]
	s_waitcnt vmcnt(2)
	v_fma_f64 v[18:19], v[88:89], v[0:1], v[54:55]
	v_fma_f64 v[34:35], v[90:91], v[0:1], v[58:59]
	;; [unrolled: 1-line block ×8, first 2 shown]
	s_clause 0x1
	buffer_load_dword v62, off, s[36:39], 0 offset:1424
	buffer_load_dword v63, off, s[36:39], 0 offset:1428
	v_mov_b32_e32 v77, v43
	v_mov_b32_e32 v76, v42
	s_waitcnt vmcnt(2)
	v_fma_f64 v[124:125], v[12:13], v[2:3], v[18:19]
	s_clause 0x1
	buffer_load_dword v12, off, s[36:39], 0 offset:1296
	buffer_load_dword v13, off, s[36:39], 0 offset:1300
	v_fma_f64 v[122:123], v[14:15], v[2:3], v[34:35]
	s_clause 0x1
	buffer_load_dword v14, off, s[36:39], 0 offset:1480
	buffer_load_dword v15, off, s[36:39], 0 offset:1484
	;; [unrolled: 4-line block ×4, first 2 shown]
	v_fma_f64 v[54:55], v[20:21], v[2:3], v[54:55]
	v_fma_f64 v[34:35], v[22:23], v[2:3], v[58:59]
	s_clause 0x1
	buffer_load_dword v22, off, s[36:39], 0 offset:1376
	buffer_load_dword v23, off, s[36:39], 0 offset:1380
	v_fma_f64 v[20:21], v[102:103], v[2:3], v[66:67]
	s_clause 0x7
	buffer_load_dword v102, off, s[36:39], 0 offset:1464
	buffer_load_dword v103, off, s[36:39], 0 offset:1468
	;; [unrolled: 1-line block ×8, first 2 shown]
	v_fma_f64 v[4:5], v[104:105], v[2:3], v[72:73]
	s_clause 0x5
	buffer_load_dword v90, off, s[36:39], 0 offset:1288
	buffer_load_dword v91, off, s[36:39], 0 offset:1292
	;; [unrolled: 1-line block ×6, first 2 shown]
	v_mov_b32_e32 v52, v56
	v_mov_b32_e32 v53, v57
	s_waitcnt vmcnt(24)
	v_mov_b32_e32 v73, v63
	v_mov_b32_e32 v72, v62
	s_waitcnt vmcnt(14)
	;; [unrolled: 3-line block ×3, first 2 shown]
	v_mov_b32_e32 v58, v86
	s_waitcnt vmcnt(2)
	v_mov_b32_e32 v47, v3
	s_waitcnt vmcnt(0)
	v_mov_b32_e32 v75, v1
	v_mov_b32_e32 v74, v0
	;; [unrolled: 1-line block ×4, first 2 shown]
	s_cbranch_vccnz .LBB0_32
; %bb.31:                               ;   in Loop: Header=BB0_21 Depth=1
	v_mov_b32_e32 v85, v3
	v_mov_b32_e32 v84, v2
	s_clause 0x1
	buffer_load_dword v2, off, s[36:39], 0 offset:1232
	buffer_load_dword v3, off, s[36:39], 0 offset:1236
	s_waitcnt vmcnt(0)
	v_fma_f64 v[18:19], v[0:1], v[2:3], 0
	s_clause 0xb
	buffer_load_dword v0, off, s[36:39], 0 offset:1224
	buffer_load_dword v1, off, s[36:39], 0 offset:1228
	buffer_load_dword v46, off, s[36:39], 0 offset:1688
	buffer_load_dword v47, off, s[36:39], 0 offset:1692
	buffer_load_dword v52, off, s[36:39], 0 offset:1664
	buffer_load_dword v53, off, s[36:39], 0 offset:1668
	buffer_load_dword v58, off, s[36:39], 0 offset:1640
	buffer_load_dword v59, off, s[36:39], 0 offset:1644
	buffer_load_dword v66, off, s[36:39], 0 offset:1608
	buffer_load_dword v67, off, s[36:39], 0 offset:1612
	buffer_load_dword v76, off, s[36:39], 0 offset:1544
	buffer_load_dword v77, off, s[36:39], 0 offset:1548
	v_fma_f64 v[74:75], v[2:3], v[56:57], 0
	v_fma_f64 v[72:73], v[2:3], v[8:9], 0
	s_waitcnt vmcnt(10)
	v_fma_f64 v[72:73], v[0:1], v[114:115], v[72:73]
	s_waitcnt vmcnt(8)
	v_fma_f64 v[18:19], v[46:47], v[0:1], v[18:19]
	v_fma_f64 v[46:47], v[2:3], v[86:87], 0
	s_waitcnt vmcnt(0)
	v_fma_f64 v[74:75], v[0:1], v[76:77], v[74:75]
	v_fma_f64 v[76:77], v[2:3], v[84:85], 0
	s_clause 0x1
	buffer_load_dword v84, off, s[36:39], 0 offset:1536
	buffer_load_dword v85, off, s[36:39], 0 offset:1540
	v_fma_f64 v[46:47], v[0:1], v[52:53], v[46:47]
	v_fma_f64 v[52:53], v[2:3], v[62:63], 0
	;; [unrolled: 1-line block ×7, first 2 shown]
	s_waitcnt vmcnt(0)
	v_fma_f64 v[76:77], v[0:1], v[84:85], v[76:77]
	s_clause 0x1
	buffer_load_dword v0, off, s[36:39], 0 offset:1248
	buffer_load_dword v1, off, s[36:39], 0 offset:1252
	s_waitcnt vmcnt(0)
	v_fma_f64 v[18:19], v[14:15], v[0:1], v[18:19]
	v_fma_f64 v[46:47], v[0:1], v[78:79], v[46:47]
	v_fma_f64 v[52:53], v[0:1], v[80:81], v[52:53]
	v_fma_f64 v[58:59], v[0:1], v[106:107], v[58:59]
	v_fma_f64 v[66:67], v[0:1], v[112:113], v[66:67]
	v_fma_f64 v[72:73], v[0:1], v[10:11], v[72:73]
	v_fma_f64 v[74:75], v[0:1], v[6:7], v[74:75]
	v_fma_f64 v[76:77], v[0:1], v[12:13], v[76:77]
	s_clause 0x3
	buffer_load_dword v0, off, s[36:39], 0 offset:1240
	buffer_load_dword v1, off, s[36:39], 0 offset:1244
	;; [unrolled: 1-line block ×4, first 2 shown]
	s_waitcnt vmcnt(2)
	v_fma_f64 v[18:19], v[88:89], v[0:1], v[18:19]
	s_waitcnt vmcnt(0)
	v_fma_f64 v[46:47], v[0:1], v[22:23], v[46:47]
	s_clause 0x1
	buffer_load_dword v22, off, s[36:39], 0 offset:1616
	buffer_load_dword v23, off, s[36:39], 0 offset:1620
	v_fma_f64 v[52:53], v[0:1], v[98:99], v[52:53]
	v_fma_f64 v[66:67], v[0:1], v[100:101], v[66:67]
	;; [unrolled: 1-line block ×5, first 2 shown]
	s_waitcnt vmcnt(0)
	v_fma_f64 v[58:59], v[0:1], v[22:23], v[58:59]
	s_clause 0x3
	buffer_load_dword v0, off, s[36:39], 0 offset:1264
	buffer_load_dword v1, off, s[36:39], 0 offset:1268
	;; [unrolled: 1-line block ×4, first 2 shown]
	s_waitcnt vmcnt(2)
	v_fma_f64 v[76:77], v[0:1], v[82:83], v[76:77]
	s_waitcnt vmcnt(0)
	v_fma_f64 v[18:19], v[8:9], v[0:1], v[18:19]
	s_clause 0x1
	buffer_load_dword v8, off, s[36:39], 0 offset:1680
	buffer_load_dword v9, off, s[36:39], 0 offset:1684
	s_waitcnt vmcnt(0)
	v_fma_f64 v[46:47], v[0:1], v[8:9], v[46:47]
	s_clause 0x1
	buffer_load_dword v8, off, s[36:39], 0 offset:1648
	buffer_load_dword v9, off, s[36:39], 0 offset:1652
	;; [unrolled: 5-line block ×7, first 2 shown]
	buffer_load_dword v8, off, s[36:39], 0 offset:1704
	buffer_load_dword v9, off, s[36:39], 0 offset:1708
	s_waitcnt vmcnt(2)
	v_fma_f64 v[46:47], v[0:1], v[102:103], v[46:47]
	v_fma_f64 v[66:67], v[0:1], v[126:127], v[66:67]
	s_waitcnt vmcnt(0)
	v_fma_f64 v[18:19], v[8:9], v[0:1], v[18:19]
	s_clause 0x1
	buffer_load_dword v8, off, s[36:39], 0 offset:1656
	buffer_load_dword v9, off, s[36:39], 0 offset:1660
	v_fma_f64 v[72:73], v[0:1], v[68:69], v[72:73]
	v_fma_f64 v[74:75], v[0:1], v[60:61], v[74:75]
	;; [unrolled: 1-line block ×3, first 2 shown]
	s_waitcnt vmcnt(0)
	v_fma_f64 v[52:53], v[0:1], v[8:9], v[52:53]
	s_clause 0x1
	buffer_load_dword v8, off, s[36:39], 0 offset:1632
	buffer_load_dword v9, off, s[36:39], 0 offset:1636
	s_waitcnt vmcnt(0)
	v_fma_f64 v[58:59], v[0:1], v[8:9], v[58:59]
	s_clause 0x1
	buffer_load_dword v0, off, s[36:39], 0 offset:1280
	buffer_load_dword v1, off, s[36:39], 0 offset:1284
	s_waitcnt vmcnt(0)
	v_fma_f64 v[18:19], v[44:45], v[0:1], v[18:19]
	v_fma_f64 v[46:47], v[0:1], v[64:65], v[46:47]
	;; [unrolled: 1-line block ×8, first 2 shown]
	s_clause 0x1
	buffer_load_dword v0, off, s[36:39], 0 offset:1272
	buffer_load_dword v1, off, s[36:39], 0 offset:1276
	s_waitcnt vmcnt(0)
	v_fma_f64 v[74:75], v[124:125], v[0:1], v[18:19]
	v_fma_f64 v[58:59], v[0:1], v[122:123], v[46:47]
	;; [unrolled: 1-line block ×8, first 2 shown]
.LBB0_32:                               ;   in Loop: Header=BB0_21 Depth=1
	buffer_store_dword v124, off, s[36:39], 0 offset:1872 ; 4-byte Folded Spill
	buffer_store_dword v125, off, s[36:39], 0 offset:1876 ; 4-byte Folded Spill
	;; [unrolled: 1-line block ×40, first 2 shown]
	s_clause 0x1
	buffer_load_dword v0, off, s[36:39], 0 offset:976
	buffer_load_dword v1, off, s[36:39], 0 offset:980
	s_waitcnt vmcnt(0)
	v_div_scale_f64 v[18:19], null, v[0:1], v[0:1], 1.0
	v_rcp_f64_e32 v[86:87], v[18:19]
	v_fma_f64 v[88:89], -v[18:19], v[86:87], 1.0
	v_fma_f64 v[86:87], v[86:87], v[88:89], v[86:87]
	v_fma_f64 v[88:89], -v[18:19], v[86:87], 1.0
	v_fma_f64 v[86:87], v[86:87], v[88:89], v[86:87]
	v_div_scale_f64 v[88:89], vcc_lo, 1.0, v[0:1], 1.0
	v_mul_f64 v[90:91], v[88:89], v[86:87]
	v_fma_f64 v[18:19], -v[18:19], v[90:91], v[88:89]
	v_div_fmas_f64 v[18:19], v[18:19], v[86:87], v[90:91]
	s_andn2_b32 vcc_lo, exec_lo, s30
	v_div_fixup_f64 v[86:87], v[18:19], v[0:1], 1.0
	s_clause 0x3
	buffer_load_dword v0, off, s[36:39], 0 offset:624
	buffer_load_dword v1, off, s[36:39], 0 offset:628
	;; [unrolled: 1-line block ×4, first 2 shown]
	v_mul_f64 v[126:127], v[86:87], v[84:85]
	v_mul_f64 v[28:29], v[86:87], v[46:47]
	v_mul_f64 v[52:53], v[86:87], v[52:53]
	v_mul_f64 v[30:31], v[86:87], v[66:67]
	v_mul_f64 v[116:117], v[86:87], v[76:77]
	v_mul_f64 v[72:73], v[86:87], v[72:73]
	v_mul_f64 v[58:59], v[86:87], v[58:59]
	v_mul_f64 v[46:47], v[86:87], v[74:75]
	v_mov_b32_e32 v112, v126
	v_mov_b32_e32 v65, v29
	;; [unrolled: 1-line block ×6, first 2 shown]
	s_waitcnt vmcnt(2)
	v_mov_b32_e32 v5, v1
	v_mov_b32_e32 v4, v0
	buffer_store_dword v4, off, s[36:39], 0 offset:944 ; 4-byte Folded Spill
	buffer_store_dword v5, off, s[36:39], 0 offset:948 ; 4-byte Folded Spill
	s_waitcnt vmcnt(0)
	v_mov_b32_e32 v5, v3
	v_mov_b32_e32 v4, v2
	buffer_store_dword v4, off, s[36:39], 0 offset:896 ; 4-byte Folded Spill
	buffer_store_dword v5, off, s[36:39], 0 offset:900 ; 4-byte Folded Spill
	v_mov_b32_e32 v4, v24
	v_mov_b32_e32 v5, v25
	buffer_store_dword v4, off, s[36:39], 0 offset:432 ; 4-byte Folded Spill
	buffer_store_dword v5, off, s[36:39], 0 offset:436 ; 4-byte Folded Spill
	;; [unrolled: 4-line block ×3, first 2 shown]
	s_clause 0x3
	buffer_load_dword v6, off, s[36:39], 0 offset:32
	buffer_load_dword v7, off, s[36:39], 0 offset:36
	;; [unrolled: 1-line block ×4, first 2 shown]
	s_waitcnt vmcnt(2)
	v_mov_b32_e32 v4, v6
	v_mov_b32_e32 v5, v7
	buffer_store_dword v4, off, s[36:39], 0 offset:768 ; 4-byte Folded Spill
	buffer_store_dword v5, off, s[36:39], 0 offset:772 ; 4-byte Folded Spill
	s_waitcnt vmcnt(0)
	v_mov_b32_e32 v4, v8
	v_mov_b32_e32 v5, v9
	buffer_store_dword v4, off, s[36:39], 0 offset:608 ; 4-byte Folded Spill
	buffer_store_dword v5, off, s[36:39], 0 offset:612 ; 4-byte Folded Spill
	s_clause 0x7
	buffer_load_dword v4, off, s[36:39], 0 offset:384
	buffer_load_dword v5, off, s[36:39], 0 offset:388
	;; [unrolled: 1-line block ×8, first 2 shown]
	s_waitcnt vmcnt(6)
	v_mov_b32_e32 v103, v5
	v_mov_b32_e32 v102, v4
	s_waitcnt vmcnt(2)
	v_mov_b32_e32 v4, v104
	v_mov_b32_e32 v5, v105
	;; [unrolled: 1-line block ×3, first 2 shown]
	buffer_store_dword v4, off, s[36:39], 0 offset:1152 ; 4-byte Folded Spill
	buffer_store_dword v5, off, s[36:39], 0 offset:1156 ; 4-byte Folded Spill
	s_waitcnt vmcnt(0)
	v_mov_b32_e32 v4, v106
	v_mov_b32_e32 v5, v107
	;; [unrolled: 1-line block ×3, first 2 shown]
	buffer_store_dword v4, off, s[36:39], 0 offset:928 ; 4-byte Folded Spill
	buffer_store_dword v5, off, s[36:39], 0 offset:932 ; 4-byte Folded Spill
	s_clause 0x3
	buffer_load_dword v82, off, s[36:39], 0 offset:208
	buffer_load_dword v83, off, s[36:39], 0 offset:212
	;; [unrolled: 1-line block ×4, first 2 shown]
	s_waitcnt vmcnt(2)
	v_mov_b32_e32 v4, v82
	v_mov_b32_e32 v5, v83
	buffer_store_dword v4, off, s[36:39], 0 offset:448 ; 4-byte Folded Spill
	buffer_store_dword v5, off, s[36:39], 0 offset:452 ; 4-byte Folded Spill
	s_waitcnt vmcnt(0)
	v_mov_b32_e32 v4, v84
	v_mov_b32_e32 v5, v85
	buffer_store_dword v4, off, s[36:39], 0 offset:1584 ; 4-byte Folded Spill
	buffer_store_dword v5, off, s[36:39], 0 offset:1588 ; 4-byte Folded Spill
	s_clause 0x3
	buffer_load_dword v4, off, s[36:39], 0 offset:16
	buffer_load_dword v5, off, s[36:39], 0 offset:20
	;; [unrolled: 1-line block ×4, first 2 shown]
	s_waitcnt vmcnt(3)
	buffer_store_dword v4, off, s[36:39], 0 offset:784 ; 4-byte Folded Spill
	s_waitcnt vmcnt(2)
	buffer_store_dword v5, off, s[36:39], 0 offset:788 ; 4-byte Folded Spill
	s_waitcnt vmcnt(0)
	v_mov_b32_e32 v4, v6
	v_mov_b32_e32 v5, v7
	buffer_store_dword v4, off, s[36:39], 0 offset:1560 ; 4-byte Folded Spill
	buffer_store_dword v5, off, s[36:39], 0 offset:1564 ; 4-byte Folded Spill
	s_clause 0x7
	buffer_load_dword v78, off, s[36:39], 0 offset:192
	buffer_load_dword v79, off, s[36:39], 0 offset:196
	;; [unrolled: 1-line block ×8, first 2 shown]
	s_waitcnt vmcnt(6)
	v_mov_b32_e32 v115, v79
	s_waitcnt vmcnt(2)
	v_mov_b32_e32 v4, v60
	v_mov_b32_e32 v5, v61
	buffer_store_dword v4, off, s[36:39], 0 offset:976 ; 4-byte Folded Spill
	buffer_store_dword v5, off, s[36:39], 0 offset:980 ; 4-byte Folded Spill
	s_waitcnt vmcnt(0)
	v_mov_b32_e32 v4, v62
	v_mov_b32_e32 v5, v63
	buffer_store_dword v4, off, s[36:39], 0 offset:512 ; 4-byte Folded Spill
	buffer_store_dword v5, off, s[36:39], 0 offset:516 ; 4-byte Folded Spill
	s_clause 0x3
	buffer_load_dword v6, off, s[36:39], 0
	buffer_load_dword v7, off, s[36:39], 0 offset:4
	buffer_load_dword v8, off, s[36:39], 0 offset:8
	;; [unrolled: 1-line block ×3, first 2 shown]
	v_mov_b32_e32 v99, v81
	v_mov_b32_e32 v114, v78
	;; [unrolled: 1-line block ×3, first 2 shown]
	s_waitcnt vmcnt(2)
	v_mov_b32_e32 v4, v6
	v_mov_b32_e32 v5, v7
	buffer_store_dword v4, off, s[36:39], 0 offset:464 ; 4-byte Folded Spill
	buffer_store_dword v5, off, s[36:39], 0 offset:468 ; 4-byte Folded Spill
	s_waitcnt vmcnt(0)
	v_mov_b32_e32 v4, v8
	v_mov_b32_e32 v5, v9
	buffer_store_dword v4, off, s[36:39], 0 offset:1144 ; 4-byte Folded Spill
	buffer_store_dword v5, off, s[36:39], 0 offset:1148 ; 4-byte Folded Spill
	s_clause 0x3
	buffer_load_dword v6, off, s[36:39], 0 offset:160
	buffer_load_dword v7, off, s[36:39], 0 offset:164
	;; [unrolled: 1-line block ×4, first 2 shown]
	s_waitcnt vmcnt(2)
	v_mov_b32_e32 v4, v6
	v_mov_b32_e32 v5, v7
	buffer_store_dword v4, off, s[36:39], 0 offset:416 ; 4-byte Folded Spill
	buffer_store_dword v5, off, s[36:39], 0 offset:420 ; 4-byte Folded Spill
	s_waitcnt vmcnt(0)
	v_mov_b32_e32 v4, v8
	v_mov_b32_e32 v5, v9
	buffer_store_dword v4, off, s[36:39], 0 offset:752 ; 4-byte Folded Spill
	buffer_store_dword v5, off, s[36:39], 0 offset:756 ; 4-byte Folded Spill
	s_clause 0x7
	buffer_load_dword v4, off, s[36:39], 0 offset:80
	buffer_load_dword v5, off, s[36:39], 0 offset:84
	;; [unrolled: 1-line block ×8, first 2 shown]
	s_waitcnt vmcnt(6)
	v_mov_b32_e32 v119, v5
	v_mov_b32_e32 v118, v4
	s_waitcnt vmcnt(2)
	v_mov_b32_e32 v4, v12
	v_mov_b32_e32 v5, v13
	buffer_store_dword v4, off, s[36:39], 0 offset:592 ; 4-byte Folded Spill
	buffer_store_dword v5, off, s[36:39], 0 offset:596 ; 4-byte Folded Spill
	s_waitcnt vmcnt(0)
	v_mov_b32_e32 v4, v14
	v_mov_b32_e32 v5, v15
	buffer_store_dword v4, off, s[36:39], 0 offset:960 ; 4-byte Folded Spill
	buffer_store_dword v5, off, s[36:39], 0 offset:964 ; 4-byte Folded Spill
	s_clause 0x3
	buffer_load_dword v8, off, s[36:39], 0 offset:96
	buffer_load_dword v9, off, s[36:39], 0 offset:100
	;; [unrolled: 1-line block ×4, first 2 shown]
	v_mov_b32_e32 v93, v7
	v_mov_b32_e32 v92, v6
	s_waitcnt vmcnt(2)
	v_mov_b32_e32 v4, v8
	v_mov_b32_e32 v5, v9
	buffer_store_dword v4, off, s[36:39], 0 offset:912 ; 4-byte Folded Spill
	buffer_store_dword v5, off, s[36:39], 0 offset:916 ; 4-byte Folded Spill
	s_waitcnt vmcnt(0)
	v_mov_b32_e32 v4, v10
	v_mov_b32_e32 v5, v11
	buffer_store_dword v4, off, s[36:39], 0 offset:864 ; 4-byte Folded Spill
	buffer_store_dword v5, off, s[36:39], 0 offset:868 ; 4-byte Folded Spill
	s_clause 0x3
	buffer_load_dword v16, off, s[36:39], 0 offset:48
	buffer_load_dword v17, off, s[36:39], 0 offset:52
	;; [unrolled: 1-line block ×4, first 2 shown]
	s_waitcnt vmcnt(2)
	v_mov_b32_e32 v4, v16
	v_mov_b32_e32 v5, v17
	buffer_store_dword v4, off, s[36:39], 0 offset:800 ; 4-byte Folded Spill
	buffer_store_dword v5, off, s[36:39], 0 offset:804 ; 4-byte Folded Spill
	s_waitcnt vmcnt(0)
	v_mov_b32_e32 v4, v18
	v_mov_b32_e32 v5, v19
	buffer_store_dword v4, off, s[36:39], 0 offset:1120 ; 4-byte Folded Spill
	buffer_store_dword v5, off, s[36:39], 0 offset:1124 ; 4-byte Folded Spill
	s_clause 0x3
	buffer_load_dword v4, off, s[36:39], 0 offset:128
	buffer_load_dword v5, off, s[36:39], 0 offset:132
	;; [unrolled: 1-line block ×4, first 2 shown]
	v_mov_b32_e32 v18, v50
	v_mov_b32_e32 v19, v51
	s_waitcnt vmcnt(2)
	v_mov_b32_e32 v17, v5
	v_mov_b32_e32 v16, v4
	buffer_store_dword v16, off, s[36:39], 0 offset:736 ; 4-byte Folded Spill
	buffer_store_dword v17, off, s[36:39], 0 offset:740 ; 4-byte Folded Spill
	s_clause 0x3
	buffer_load_dword v68, off, s[36:39], 0 offset:688
	buffer_load_dword v69, off, s[36:39], 0 offset:692
	;; [unrolled: 1-line block ×4, first 2 shown]
	s_waitcnt vmcnt(4)
	v_mov_b32_e32 v91, v7
	v_mov_b32_e32 v90, v6
	s_waitcnt vmcnt(2)
	v_mov_b32_e32 v16, v68
	v_mov_b32_e32 v17, v69
	buffer_store_dword v16, off, s[36:39], 0 offset:984 ; 4-byte Folded Spill
	buffer_store_dword v17, off, s[36:39], 0 offset:988 ; 4-byte Folded Spill
	s_waitcnt vmcnt(0)
	v_mov_b32_e32 v16, v70
	v_mov_b32_e32 v17, v71
	buffer_store_dword v16, off, s[36:39], 0 offset:560 ; 4-byte Folded Spill
	buffer_store_dword v17, off, s[36:39], 0 offset:564 ; 4-byte Folded Spill
	v_mov_b32_e32 v16, v108
	v_mov_b32_e32 v17, v109
	buffer_store_dword v16, off, s[36:39], 0 offset:1592 ; 4-byte Folded Spill
	buffer_store_dword v17, off, s[36:39], 0 offset:1596 ; 4-byte Folded Spill
	;; [unrolled: 4-line block ×3, first 2 shown]
	s_clause 0x3
	buffer_load_dword v54, off, s[36:39], 0 offset:1008
	buffer_load_dword v55, off, s[36:39], 0 offset:1012
	;; [unrolled: 1-line block ×4, first 2 shown]
	s_waitcnt vmcnt(2)
	v_mov_b32_e32 v16, v54
	v_mov_b32_e32 v17, v55
	buffer_store_dword v16, off, s[36:39], 0 offset:832 ; 4-byte Folded Spill
	buffer_store_dword v17, off, s[36:39], 0 offset:836 ; 4-byte Folded Spill
	s_waitcnt vmcnt(0)
	v_mov_b32_e32 v16, v56
	v_mov_b32_e32 v17, v57
	buffer_store_dword v16, off, s[36:39], 0 offset:256 ; 4-byte Folded Spill
	buffer_store_dword v17, off, s[36:39], 0 offset:260 ; 4-byte Folded Spill
	s_clause 0x3
	buffer_load_dword v42, off, s[36:39], 0 offset:320
	buffer_load_dword v43, off, s[36:39], 0 offset:324
	buffer_load_dword v44, off, s[36:39], 0 offset:328
	buffer_load_dword v45, off, s[36:39], 0 offset:332
	s_waitcnt vmcnt(2)
	v_mov_b32_e32 v16, v42
	v_mov_b32_e32 v17, v43
	buffer_store_dword v16, off, s[36:39], 0 offset:1112 ; 4-byte Folded Spill
	buffer_store_dword v17, off, s[36:39], 0 offset:1116 ; 4-byte Folded Spill
	s_clause 0x3
	buffer_load_dword v122, off, s[36:39], 0 offset:144
	buffer_load_dword v123, off, s[36:39], 0 offset:148
	;; [unrolled: 1-line block ×4, first 2 shown]
	s_waitcnt vmcnt(4)
	v_mov_b32_e32 v36, v44
	v_mov_b32_e32 v37, v45
	s_waitcnt vmcnt(2)
	v_mov_b32_e32 v16, v122
	v_mov_b32_e32 v17, v123
	buffer_store_dword v16, off, s[36:39], 0 offset:992 ; 4-byte Folded Spill
	buffer_store_dword v17, off, s[36:39], 0 offset:996 ; 4-byte Folded Spill
	s_waitcnt vmcnt(0)
	v_mov_b32_e32 v16, v124
	v_mov_b32_e32 v17, v125
	buffer_store_dword v16, off, s[36:39], 0 offset:576 ; 4-byte Folded Spill
	buffer_store_dword v17, off, s[36:39], 0 offset:580 ; 4-byte Folded Spill
	s_clause 0x3
	buffer_load_dword v86, off, s[36:39], 0 offset:1024
	buffer_load_dword v87, off, s[36:39], 0 offset:1028
	;; [unrolled: 1-line block ×4, first 2 shown]
	s_waitcnt vmcnt(2)
	v_mov_b32_e32 v16, v86
	v_mov_b32_e32 v17, v87
	buffer_store_dword v16, off, s[36:39], 0 offset:528 ; 4-byte Folded Spill
	buffer_store_dword v17, off, s[36:39], 0 offset:532 ; 4-byte Folded Spill
	s_waitcnt vmcnt(0)
	v_mov_b32_e32 v16, v88
	v_mov_b32_e32 v17, v89
	buffer_store_dword v16, off, s[36:39], 0 offset:480 ; 4-byte Folded Spill
	buffer_store_dword v17, off, s[36:39], 0 offset:484 ; 4-byte Folded Spill
	v_mov_b32_e32 v16, v94
	v_mov_b32_e32 v17, v95
	buffer_store_dword v16, off, s[36:39], 0 offset:848 ; 4-byte Folded Spill
	buffer_store_dword v17, off, s[36:39], 0 offset:852 ; 4-byte Folded Spill
	;; [unrolled: 4-line block ×4, first 2 shown]
	s_clause 0x3
	buffer_load_dword v20, off, s[36:39], 0 offset:336
	buffer_load_dword v21, off, s[36:39], 0 offset:340
	buffer_load_dword v22, off, s[36:39], 0 offset:344
	buffer_load_dword v23, off, s[36:39], 0 offset:348
	s_waitcnt vmcnt(2)
	v_mov_b32_e32 v16, v20
	v_mov_b32_e32 v17, v21
	buffer_store_dword v16, off, s[36:39], 0 offset:1000 ; 4-byte Folded Spill
	buffer_store_dword v17, off, s[36:39], 0 offset:1004 ; 4-byte Folded Spill
	s_waitcnt vmcnt(0)
	v_mov_b32_e32 v16, v22
	v_mov_b32_e32 v17, v23
	buffer_store_dword v16, off, s[36:39], 0 offset:1160 ; 4-byte Folded Spill
	buffer_store_dword v17, off, s[36:39], 0 offset:1164 ; 4-byte Folded Spill
	s_clause 0x3
	buffer_load_dword v74, off, s[36:39], 0 offset:112
	buffer_load_dword v75, off, s[36:39], 0 offset:116
	buffer_load_dword v76, off, s[36:39], 0 offset:120
	buffer_load_dword v77, off, s[36:39], 0 offset:124
	s_waitcnt vmcnt(2)
	v_mov_b32_e32 v16, v74
	v_mov_b32_e32 v17, v75
	buffer_store_dword v16, off, s[36:39], 0 offset:544 ; 4-byte Folded Spill
	buffer_store_dword v17, off, s[36:39], 0 offset:548 ; 4-byte Folded Spill
	s_waitcnt vmcnt(0)
	v_mov_b32_e32 v16, v76
	v_mov_b32_e32 v17, v77
	buffer_store_dword v16, off, s[36:39], 0 offset:496 ; 4-byte Folded Spill
	buffer_store_dword v17, off, s[36:39], 0 offset:500 ; 4-byte Folded Spill
	;; [unrolled: 15-line block ×3, first 2 shown]
	s_clause 0x3
	buffer_load_dword v32, off, s[36:39], 0 offset:368
	buffer_load_dword v33, off, s[36:39], 0 offset:372
	;; [unrolled: 1-line block ×4, first 2 shown]
	s_waitcnt vmcnt(2)
	v_mov_b32_e32 v16, v32
	v_mov_b32_e32 v17, v33
	buffer_store_dword v16, off, s[36:39], 0 offset:400 ; 4-byte Folded Spill
	buffer_store_dword v17, off, s[36:39], 0 offset:404 ; 4-byte Folded Spill
	;; [unrolled: 1-line block ×12, first 2 shown]
	s_waitcnt vmcnt(0)
	v_mov_b32_e32 v16, v34
	v_mov_b32_e32 v17, v35
	s_cbranch_vccnz .LBB0_34
; %bb.33:                               ;   in Loop: Header=BB0_21 Depth=1
	s_clause 0x1
	buffer_load_dword v90, off, s[36:39], 0 offset:1232
	buffer_load_dword v91, off, s[36:39], 0 offset:1236
	s_waitcnt vmcnt(0)
	v_mul_f64 v[16:17], v[46:47], v[90:91]
	buffer_store_dword v16, off, s[36:39], 0 offset:1216 ; 4-byte Folded Spill
	buffer_store_dword v17, off, s[36:39], 0 offset:1220 ; 4-byte Folded Spill
	s_clause 0x1
	buffer_load_dword v16, off, s[36:39], 0 offset:1224
	buffer_load_dword v17, off, s[36:39], 0 offset:1228
	s_waitcnt vmcnt(0)
	v_fma_f64 v[18:19], -v[46:47], v[16:17], v[0:1]
	buffer_store_dword v18, off, s[36:39], 0 offset:944 ; 4-byte Folded Spill
	buffer_store_dword v19, off, s[36:39], 0 offset:948 ; 4-byte Folded Spill
	s_clause 0x1
	buffer_load_dword v94, off, s[36:39], 0 offset:1248
	buffer_load_dword v95, off, s[36:39], 0 offset:1252
	s_waitcnt vmcnt(0)
	v_fma_f64 v[18:19], -v[46:47], v[94:95], v[104:105]
	;; [unrolled: 7-line block ×6, first 2 shown]
	buffer_store_dword v38, off, s[36:39], 0 offset:992 ; 4-byte Folded Spill
	buffer_store_dword v39, off, s[36:39], 0 offset:996 ; 4-byte Folded Spill
	s_clause 0x5
	buffer_load_dword v38, off, s[36:39], 0 offset:1272
	buffer_load_dword v39, off, s[36:39], 0 offset:1276
	buffer_load_dword v60, off, s[36:39], 0 offset:336
	buffer_load_dword v61, off, s[36:39], 0 offset:340
	buffer_load_dword v62, off, s[36:39], 0 offset:344
	buffer_load_dword v63, off, s[36:39], 0 offset:348
	s_waitcnt vmcnt(4)
	v_fma_f64 v[32:33], -v[52:53], v[38:39], v[32:33]
	s_waitcnt vmcnt(2)
	v_fma_f64 v[40:41], -v[46:47], v[38:39], v[60:61]
	buffer_store_dword v40, off, s[36:39], 0 offset:1000 ; 4-byte Folded Spill
	buffer_store_dword v41, off, s[36:39], 0 offset:1004 ; 4-byte Folded Spill
	v_mul_f64 v[40:41], v[58:59], v[90:91]
	buffer_store_dword v40, off, s[36:39], 0 offset:1720 ; 4-byte Folded Spill
	buffer_store_dword v41, off, s[36:39], 0 offset:1724 ; 4-byte Folded Spill
	v_fma_f64 v[40:41], -v[58:59], v[16:17], v[2:3]
	buffer_store_dword v40, off, s[36:39], 0 offset:896 ; 4-byte Folded Spill
	buffer_store_dword v41, off, s[36:39], 0 offset:900 ; 4-byte Folded Spill
	v_fma_f64 v[40:41], -v[58:59], v[94:95], v[106:107]
	buffer_store_dword v40, off, s[36:39], 0 offset:928 ; 4-byte Folded Spill
	buffer_store_dword v41, off, s[36:39], 0 offset:932 ; 4-byte Folded Spill
	s_clause 0x3
	buffer_load_dword v64, off, s[36:39], 0 offset:64
	buffer_load_dword v65, off, s[36:39], 0 offset:68
	;; [unrolled: 1-line block ×4, first 2 shown]
	s_waitcnt vmcnt(0)
	v_fma_f64 v[40:41], -v[58:59], v[92:93], v[66:67]
	buffer_store_dword v40, off, s[36:39], 0 offset:512 ; 4-byte Folded Spill
	buffer_store_dword v41, off, s[36:39], 0 offset:516 ; 4-byte Folded Spill
	v_fma_f64 v[40:41], -v[58:59], v[36:37], v[14:15]
	buffer_store_dword v40, off, s[36:39], 0 offset:960 ; 4-byte Folded Spill
	buffer_store_dword v41, off, s[36:39], 0 offset:964 ; 4-byte Folded Spill
	;; [unrolled: 3-line block ×5, first 2 shown]
	v_mul_f64 v[40:41], v[72:73], v[90:91]
	buffer_store_dword v40, off, s[36:39], 0 offset:1520 ; 4-byte Folded Spill
	buffer_store_dword v41, off, s[36:39], 0 offset:1524 ; 4-byte Folded Spill
	v_fma_f64 v[40:41], -v[72:73], v[16:17], v[24:25]
	buffer_store_dword v40, off, s[36:39], 0 offset:432 ; 4-byte Folded Spill
	buffer_store_dword v41, off, s[36:39], 0 offset:436 ; 4-byte Folded Spill
	v_fma_f64 v[40:41], -v[72:73], v[94:95], v[82:83]
	buffer_store_dword v40, off, s[36:39], 0 offset:448 ; 4-byte Folded Spill
	buffer_store_dword v41, off, s[36:39], 0 offset:452 ; 4-byte Folded Spill
	s_clause 0x3
	buffer_load_dword v60, off, s[36:39], 0
	buffer_load_dword v61, off, s[36:39], 0 offset:4
	buffer_load_dword v62, off, s[36:39], 0 offset:8
	buffer_load_dword v63, off, s[36:39], 0 offset:12
	s_waitcnt vmcnt(2)
	v_fma_f64 v[40:41], -v[72:73], v[92:93], v[60:61]
	buffer_store_dword v40, off, s[36:39], 0 offset:464 ; 4-byte Folded Spill
	buffer_store_dword v41, off, s[36:39], 0 offset:468 ; 4-byte Folded Spill
	v_fma_f64 v[40:41], -v[72:73], v[36:37], v[8:9]
	buffer_store_dword v40, off, s[36:39], 0 offset:912 ; 4-byte Folded Spill
	buffer_store_dword v41, off, s[36:39], 0 offset:916 ; 4-byte Folded Spill
	;; [unrolled: 3-line block ×5, first 2 shown]
	v_mul_f64 v[40:41], v[116:117], v[90:91]
	buffer_store_dword v40, off, s[36:39], 0 offset:1528 ; 4-byte Folded Spill
	buffer_store_dword v41, off, s[36:39], 0 offset:1532 ; 4-byte Folded Spill
	v_fma_f64 v[40:41], -v[116:117], v[16:17], v[26:27]
	buffer_store_dword v40, off, s[36:39], 0 offset:1128 ; 4-byte Folded Spill
	buffer_store_dword v41, off, s[36:39], 0 offset:1132 ; 4-byte Folded Spill
	v_fma_f64 v[40:41], -v[116:117], v[94:95], v[84:85]
	buffer_store_dword v40, off, s[36:39], 0 offset:1584 ; 4-byte Folded Spill
	buffer_store_dword v41, off, s[36:39], 0 offset:1588 ; 4-byte Folded Spill
	s_waitcnt vmcnt(0)
	v_fma_f64 v[40:41], -v[116:117], v[92:93], v[62:63]
	buffer_store_dword v40, off, s[36:39], 0 offset:1144 ; 4-byte Folded Spill
	buffer_store_dword v41, off, s[36:39], 0 offset:1148 ; 4-byte Folded Spill
	v_fma_f64 v[40:41], -v[116:117], v[36:37], v[10:11]
	buffer_store_dword v40, off, s[36:39], 0 offset:864 ; 4-byte Folded Spill
	buffer_store_dword v41, off, s[36:39], 0 offset:868 ; 4-byte Folded Spill
	;; [unrolled: 3-line block ×5, first 2 shown]
	v_mul_f64 v[40:41], v[30:31], v[90:91]
	buffer_store_dword v40, off, s[36:39], 0 offset:1712 ; 4-byte Folded Spill
	buffer_store_dword v41, off, s[36:39], 0 offset:1716 ; 4-byte Folded Spill
	s_clause 0x3
	buffer_load_dword v62, off, s[36:39], 0 offset:32
	buffer_load_dword v63, off, s[36:39], 0 offset:36
	buffer_load_dword v64, off, s[36:39], 0 offset:40
	buffer_load_dword v65, off, s[36:39], 0 offset:44
	s_waitcnt vmcnt(2)
	v_fma_f64 v[40:41], -v[30:31], v[16:17], v[62:63]
	buffer_store_dword v40, off, s[36:39], 0 offset:768 ; 4-byte Folded Spill
	buffer_store_dword v41, off, s[36:39], 0 offset:772 ; 4-byte Folded Spill
	s_clause 0x3
	buffer_load_dword v60, off, s[36:39], 0 offset:16
	buffer_load_dword v61, off, s[36:39], 0 offset:20
	buffer_load_dword v62, off, s[36:39], 0 offset:24
	buffer_load_dword v63, off, s[36:39], 0 offset:28
	s_waitcnt vmcnt(2)
	v_fma_f64 v[40:41], -v[30:31], v[94:95], v[60:61]
	;; [unrolled: 9-line block ×4, first 2 shown]
	buffer_store_dword v40, off, s[36:39], 0 offset:800 ; 4-byte Folded Spill
	buffer_store_dword v41, off, s[36:39], 0 offset:804 ; 4-byte Folded Spill
	v_fma_f64 v[40:41], -v[30:31], v[18:19], v[54:55]
	buffer_store_dword v40, off, s[36:39], 0 offset:832 ; 4-byte Folded Spill
	buffer_store_dword v41, off, s[36:39], 0 offset:836 ; 4-byte Folded Spill
	s_clause 0x3
	buffer_load_dword v112, off, s[36:39], 0 offset:672
	buffer_load_dword v113, off, s[36:39], 0 offset:676
	;; [unrolled: 1-line block ×4, first 2 shown]
	s_waitcnt vmcnt(2)
	v_fma_f64 v[40:41], -v[30:31], v[96:97], v[112:113]
	v_mul_f64 v[112:113], v[126:127], v[90:91]
	buffer_store_dword v40, off, s[36:39], 0 offset:848 ; 4-byte Folded Spill
	buffer_store_dword v41, off, s[36:39], 0 offset:852 ; 4-byte Folded Spill
	v_fma_f64 v[40:41], -v[30:31], v[38:39], v[20:21]
	buffer_store_dword v40, off, s[36:39], 0 offset:272 ; 4-byte Folded Spill
	buffer_store_dword v41, off, s[36:39], 0 offset:276 ; 4-byte Folded Spill
	v_fma_f64 v[40:41], -v[126:127], v[16:17], v[64:65]
	;; [unrolled: 3-line block ×3, first 2 shown]
	s_clause 0x3
	buffer_load_dword v60, off, s[36:39], 0 offset:64
	buffer_load_dword v61, off, s[36:39], 0 offset:68
	;; [unrolled: 1-line block ×4, first 2 shown]
	buffer_store_dword v40, off, s[36:39], 0 offset:1560 ; 4-byte Folded Spill
	buffer_store_dword v41, off, s[36:39], 0 offset:1564 ; 4-byte Folded Spill
	v_fma_f64 v[40:41], -v[126:127], v[92:93], v[100:101]
	buffer_store_dword v40, off, s[36:39], 0 offset:752 ; 4-byte Folded Spill
	buffer_store_dword v41, off, s[36:39], 0 offset:756 ; 4-byte Folded Spill
	v_fma_f64 v[40:41], -v[126:127], v[36:37], v[120:121]
	;; [unrolled: 3-line block ×3, first 2 shown]
	buffer_store_dword v40, off, s[36:39], 0 offset:256 ; 4-byte Folded Spill
	buffer_store_dword v41, off, s[36:39], 0 offset:260 ; 4-byte Folded Spill
	s_waitcnt vmcnt(4)
	v_fma_f64 v[40:41], -v[126:127], v[96:97], v[114:115]
	v_fma_f64 v[114:115], -v[52:53], v[94:95], v[78:79]
	buffer_store_dword v40, off, s[36:39], 0 offset:1136 ; 4-byte Folded Spill
	buffer_store_dword v41, off, s[36:39], 0 offset:1140 ; 4-byte Folded Spill
	v_fma_f64 v[40:41], -v[126:127], v[38:39], v[22:23]
	buffer_store_dword v40, off, s[36:39], 0 offset:816 ; 4-byte Folded Spill
	buffer_store_dword v41, off, s[36:39], 0 offset:820 ; 4-byte Folded Spill
	s_clause 0x7
	buffer_load_dword v98, off, s[36:39], 0 offset:384
	buffer_load_dword v99, off, s[36:39], 0 offset:388
	buffer_load_dword v100, off, s[36:39], 0 offset:392
	buffer_load_dword v101, off, s[36:39], 0 offset:396
	buffer_load_dword v64, off, s[36:39], 0 offset:80
	buffer_load_dword v65, off, s[36:39], 0 offset:84
	buffer_load_dword v66, off, s[36:39], 0 offset:88
	buffer_load_dword v67, off, s[36:39], 0 offset:92
	v_mul_f64 v[40:41], v[52:53], v[90:91]
	s_waitcnt vmcnt(6)
	v_fma_f64 v[102:103], -v[52:53], v[16:17], v[98:99]
	s_waitcnt vmcnt(2)
	v_fma_f64 v[118:119], -v[52:53], v[92:93], v[64:65]
	v_fma_f64 v[64:65], -v[52:53], v[36:37], v[4:5]
	;; [unrolled: 1-line block ×4, first 2 shown]
	s_waitcnt vmcnt(0)
	v_fma_f64 v[92:93], -v[28:29], v[92:93], v[66:67]
	v_fma_f64 v[16:17], -v[28:29], v[38:39], v[34:35]
	buffer_store_dword v64, off, s[36:39], 0 offset:736 ; 4-byte Folded Spill
	buffer_store_dword v65, off, s[36:39], 0 offset:740 ; 4-byte Folded Spill
	v_fma_f64 v[64:65], -v[52:53], v[18:19], v[42:43]
	buffer_store_dword v64, off, s[36:39], 0 offset:1112 ; 4-byte Folded Spill
	buffer_store_dword v65, off, s[36:39], 0 offset:1116 ; 4-byte Folded Spill
	;; [unrolled: 3-line block ×3, first 2 shown]
	v_mul_f64 v[64:65], v[28:29], v[90:91]
	v_fma_f64 v[90:91], -v[28:29], v[36:37], v[6:7]
	v_fma_f64 v[36:37], -v[28:29], v[18:19], v[44:45]
	;; [unrolled: 1-line block ×3, first 2 shown]
	buffer_store_dword v32, off, s[36:39], 0 offset:400 ; 4-byte Folded Spill
	buffer_store_dword v33, off, s[36:39], 0 offset:404 ; 4-byte Folded Spill
.LBB0_34:                               ;   in Loop: Header=BB0_21 Depth=1
	buffer_store_dword v40, off, s[36:39], 0 offset:1832 ; 4-byte Folded Spill
	buffer_store_dword v41, off, s[36:39], 0 offset:1836 ; 4-byte Folded Spill
	;; [unrolled: 1-line block ×26, first 2 shown]
	v_mov_b32_e32 v99, v51
	v_mov_b32_e32 v98, v50
	v_mov_b32_e32 v97, v49
	v_mov_b32_e32 v96, v48
	v_mov_b32_e32 v51, v45
	v_mov_b32_e32 v64, v82
	s_clause 0x3
	buffer_load_dword v100, off, s[36:39], 0 offset:336
	buffer_load_dword v101, off, s[36:39], 0 offset:340
	;; [unrolled: 1-line block ×4, first 2 shown]
	v_mov_b32_e32 v50, v44
	v_mov_b32_e32 v49, v43
	;; [unrolled: 1-line block ×6, first 2 shown]
	s_clause 0x7
	buffer_load_dword v82, off, s[36:39], 0 offset:640
	buffer_load_dword v83, off, s[36:39], 0 offset:644
	;; [unrolled: 1-line block ×8, first 2 shown]
	v_mov_b32_e32 v35, v7
	v_mov_b32_e32 v34, v6
	;; [unrolled: 1-line block ×18, first 2 shown]
	s_clause 0xf
	buffer_load_dword v14, off, s[36:39], 0 offset:1040
	buffer_load_dword v15, off, s[36:39], 0 offset:1044
	buffer_load_dword v16, off, s[36:39], 0 offset:1048
	buffer_load_dword v17, off, s[36:39], 0 offset:1052
	buffer_load_dword v18, off, s[36:39], 0 offset:1056
	buffer_load_dword v19, off, s[36:39], 0 offset:1060
	buffer_load_dword v20, off, s[36:39], 0 offset:1064
	buffer_load_dword v21, off, s[36:39], 0 offset:1068
	buffer_load_dword v22, off, s[36:39], 0 offset:1072
	buffer_load_dword v23, off, s[36:39], 0 offset:1076
	buffer_load_dword v24, off, s[36:39], 0 offset:1080
	buffer_load_dword v25, off, s[36:39], 0 offset:1084
	buffer_load_dword v26, off, s[36:39], 0 offset:1088
	buffer_load_dword v27, off, s[36:39], 0 offset:1092
	buffer_load_dword v28, off, s[36:39], 0 offset:1096
	buffer_load_dword v29, off, s[36:39], 0 offset:1100
	v_mov_b32_e32 v112, v122
	v_mov_b32_e32 v113, v123
	;; [unrolled: 1-line block ×8, first 2 shown]
	s_mov_b32 m0, s31
	s_add_i32 s29, s29, 1
	s_cmp_eq_u32 s28, s29
	s_waitcnt vmcnt(14)
	v_fma_f64 v[122:123], v[82:83], v[14:15], 0
	v_fma_f64 v[94:95], v[14:15], v[84:85], 0
	s_waitcnt vmcnt(12)
	v_fma_f64 v[122:123], v[0:1], v[16:17], v[122:123]
	v_fma_f64 v[94:95], v[16:17], v[2:3], v[94:95]
	;; [unrolled: 3-line block ×6, first 2 shown]
	s_clause 0xf
	buffer_load_dword v0, off, s[36:39], 0 offset:32
	buffer_load_dword v1, off, s[36:39], 0 offset:36
	buffer_load_dword v2, off, s[36:39], 0 offset:40
	buffer_load_dword v3, off, s[36:39], 0 offset:44
	buffer_load_dword v60, off, s[36:39], 0 offset:16
	buffer_load_dword v61, off, s[36:39], 0 offset:20
	buffer_load_dword v62, off, s[36:39], 0 offset:24
	buffer_load_dword v63, off, s[36:39], 0 offset:28
	buffer_load_dword v36, off, s[36:39], 0 offset:48
	buffer_load_dword v37, off, s[36:39], 0 offset:52
	buffer_load_dword v38, off, s[36:39], 0 offset:56
	buffer_load_dword v39, off, s[36:39], 0 offset:60
	buffer_load_dword v68, off, s[36:39], 0 offset:176
	buffer_load_dword v69, off, s[36:39], 0 offset:180
	buffer_load_dword v70, off, s[36:39], 0 offset:184
	buffer_load_dword v71, off, s[36:39], 0 offset:188
	s_waitcnt vmcnt(18)
	v_fma_f64 v[122:123], v[112:113], v[26:27], v[122:123]
	v_fma_f64 v[94:95], v[26:27], v[114:115], v[94:95]
	s_waitcnt vmcnt(16)
	v_fma_f64 v[122:123], v[100:101], v[28:29], v[122:123]
	v_fma_f64 v[94:95], v[28:29], v[102:103], v[94:95]
	s_clause 0x3
	buffer_load_dword v100, off, s[36:39], 0
	buffer_load_dword v101, off, s[36:39], 0 offset:4
	buffer_load_dword v102, off, s[36:39], 0 offset:8
	;; [unrolled: 1-line block ×3, first 2 shown]
	s_waitcnt vmcnt(6)
	v_fma_f64 v[106:107], v[14:15], v[68:69], 0
	s_waitcnt vmcnt(4)
	v_fma_f64 v[112:113], v[14:15], v[70:71], 0
	v_fma_f64 v[106:107], v[16:17], v[4:5], v[106:107]
	;; [unrolled: 1-line block ×5, first 2 shown]
	s_waitcnt vmcnt(2)
	v_fma_f64 v[106:107], v[20:21], v[100:101], v[106:107]
	s_waitcnt vmcnt(0)
	v_fma_f64 v[112:113], v[20:21], v[102:103], v[112:113]
	v_fma_f64 v[106:107], v[22:23], v[8:9], v[106:107]
	;; [unrolled: 1-line block ×9, first 2 shown]
	s_clause 0xf
	buffer_load_dword v6, off, s[36:39], 0 offset:304
	buffer_load_dword v7, off, s[36:39], 0 offset:308
	;; [unrolled: 1-line block ×16, first 2 shown]
	s_waitcnt vmcnt(14)
	v_fma_f64 v[118:119], v[14:15], v[6:7], 0
	s_waitcnt vmcnt(12)
	v_fma_f64 v[120:121], v[14:15], v[8:9], 0
	v_fma_f64 v[118:119], v[16:17], v[0:1], v[118:119]
	;; [unrolled: 1-line block ×3, first 2 shown]
	s_clause 0x3
	buffer_load_dword v2, off, s[36:39], 0 offset:288
	buffer_load_dword v3, off, s[36:39], 0 offset:292
	;; [unrolled: 1-line block ×4, first 2 shown]
	v_fma_f64 v[118:119], v[18:19], v[60:61], v[118:119]
	v_fma_f64 v[120:121], v[18:19], v[62:63], v[120:121]
	s_waitcnt vmcnt(10)
	v_fma_f64 v[118:119], v[20:21], v[10:11], v[118:119]
	s_waitcnt vmcnt(8)
	v_fma_f64 v[120:121], v[20:21], v[12:13], v[120:121]
	s_clause 0x3
	buffer_load_dword v10, off, s[36:39], 0 offset:368
	buffer_load_dword v11, off, s[36:39], 0 offset:372
	;; [unrolled: 1-line block ×4, first 2 shown]
	v_fma_f64 v[118:119], v[22:23], v[36:37], v[118:119]
	v_fma_f64 v[120:121], v[22:23], v[38:39], v[120:121]
	;; [unrolled: 1-line block ×4, first 2 shown]
	s_waitcnt vmcnt(10)
	v_fma_f64 v[118:119], v[26:27], v[64:65], v[118:119]
	s_waitcnt vmcnt(8)
	v_fma_f64 v[120:121], v[26:27], v[66:67], v[120:121]
	v_fma_f64 v[118:119], v[28:29], v[90:91], v[118:119]
	v_fma_f64 v[120:121], v[28:29], v[92:93], v[120:121]
	s_waitcnt vmcnt(6)
	v_fma_f64 v[124:125], v[14:15], v[2:3], 0
	s_waitcnt vmcnt(4)
	v_fma_f64 v[0:1], v[14:15], v[4:5], 0
	v_fma_f64 v[124:125], v[16:17], v[74:75], v[124:125]
	;; [unrolled: 1-line block ×13, first 2 shown]
	s_waitcnt vmcnt(2)
	v_fma_f64 v[124:125], v[28:29], v[10:11], v[124:125]
	s_clause 0x3
	buffer_load_dword v10, off, s[36:39], 0 offset:368
	buffer_load_dword v11, off, s[36:39], 0 offset:372
	;; [unrolled: 1-line block ×4, first 2 shown]
	s_waitcnt vmcnt(0)
	v_fma_f64 v[14:15], v[28:29], v[12:13], v[0:1]
	s_clause 0x1
	buffer_load_dword v0, off, s[36:39], 0 offset:1208
	buffer_load_dword v1, off, s[36:39], 0 offset:1212
	s_waitcnt vmcnt(0)
	v_fma_f64 v[20:21], v[0:1], v[46:47], v[122:123]
	v_fma_f64 v[22:23], v[0:1], v[58:59], v[94:95]
	;; [unrolled: 1-line block ×8, first 2 shown]
	s_clause 0x1
	buffer_load_dword v0, off, s[36:39], 0 offset:1728
	buffer_load_dword v1, off, s[36:39], 0 offset:1732
	v_movrels_b32_e32 v19, v21
	v_movrels_b32_e32 v18, v20
	s_waitcnt vmcnt(0)
	v_add_f64 v[18:19], v[0:1], v[18:19]
	v_movreld_b32_e32 v20, v18
	v_movreld_b32_e32 v21, v19
	buffer_store_dword v20, off, s[36:39], 0 offset:1040 ; 4-byte Folded Spill
	buffer_store_dword v21, off, s[36:39], 0 offset:1044 ; 4-byte Folded Spill
	;; [unrolled: 1-line block ×16, first 2 shown]
	s_clause 0x1
	buffer_load_dword v0, off, s[36:39], 0 offset:1816
	buffer_load_dword v1, off, s[36:39], 0 offset:1820
	s_waitcnt vmcnt(0)
	v_add_f64 v[14:15], v[4:5], -v[0:1]
	s_clause 0x1
	buffer_load_dword v0, off, s[36:39], 0 offset:1832
	buffer_load_dword v1, off, s[36:39], 0 offset:1836
	s_waitcnt vmcnt(0)
	v_add_f64 v[16:17], v[2:3], -v[0:1]
	;; [unrolled: 5-line block ×7, first 2 shown]
	s_clause 0x3
	buffer_load_dword v0, off, s[36:39], 0 offset:1216
	buffer_load_dword v1, off, s[36:39], 0 offset:1220
	;; [unrolled: 1-line block ×4, first 2 shown]
	s_waitcnt vmcnt(2)
	v_add_f64 v[0:1], v[82:83], -v[0:1]
	v_mov_b32_e32 v83, v11
	v_mov_b32_e32 v82, v10
	;; [unrolled: 1-line block ×4, first 2 shown]
	buffer_store_dword v94, off, s[36:39], 0 offset:1216 ; 4-byte Folded Spill
	buffer_store_dword v95, off, s[36:39], 0 offset:1220 ; 4-byte Folded Spill
	s_waitcnt vmcnt(0)
	v_fma_f64 v[58:59], v[48:49], v[0:1], 0
	s_clause 0x3
	buffer_load_dword v0, off, s[36:39], 0 offset:944
	buffer_load_dword v1, off, s[36:39], 0 offset:948
	;; [unrolled: 1-line block ×4, first 2 shown]
	s_waitcnt vmcnt(2)
	v_mov_b32_e32 v79, v1
	v_mov_b32_e32 v78, v0
	buffer_store_dword v78, off, s[36:39], 0 offset:944 ; 4-byte Folded Spill
	buffer_store_dword v79, off, s[36:39], 0 offset:948 ; 4-byte Folded Spill
	s_waitcnt vmcnt(0)
	v_fma_f64 v[58:59], v[38:39], v[0:1], v[58:59]
	s_clause 0x3
	buffer_load_dword v0, off, s[36:39], 0 offset:1152
	buffer_load_dword v1, off, s[36:39], 0 offset:1156
	buffer_load_dword v56, off, s[36:39], 0 offset:1480
	buffer_load_dword v57, off, s[36:39], 0 offset:1484
	s_waitcnt vmcnt(2)
	v_mov_b32_e32 v45, v1
	v_mov_b32_e32 v44, v0
	s_waitcnt vmcnt(0)
	v_fma_f64 v[58:59], v[56:57], v[0:1], v[58:59]
	s_clause 0x3
	buffer_load_dword v0, off, s[36:39], 0 offset:976
	buffer_load_dword v1, off, s[36:39], 0 offset:980
	buffer_load_dword v8, off, s[36:39], 0 offset:1488
	buffer_load_dword v9, off, s[36:39], 0 offset:1492
	s_waitcnt vmcnt(2)
	v_mov_b32_e32 v37, v1
	v_mov_b32_e32 v36, v0
	;; [unrolled: 10-line block ×3, first 2 shown]
	buffer_store_dword v86, off, s[36:39], 0 offset:592 ; 4-byte Folded Spill
	buffer_store_dword v87, off, s[36:39], 0 offset:596 ; 4-byte Folded Spill
	s_waitcnt vmcnt(0)
	v_fma_f64 v[58:59], v[52:53], v[0:1], v[58:59]
	s_clause 0x3
	buffer_load_dword v0, off, s[36:39], 0 offset:984
	buffer_load_dword v1, off, s[36:39], 0 offset:988
	;; [unrolled: 1-line block ×4, first 2 shown]
	s_waitcnt vmcnt(2)
	v_mov_b32_e32 v107, v1
	v_mov_b32_e32 v106, v0
	buffer_store_dword v106, off, s[36:39], 0 offset:984 ; 4-byte Folded Spill
	buffer_store_dword v107, off, s[36:39], 0 offset:988 ; 4-byte Folded Spill
	s_waitcnt vmcnt(0)
	v_fma_f64 v[58:59], v[54:55], v[0:1], v[58:59]
	s_clause 0x3
	buffer_load_dword v0, off, s[36:39], 0 offset:992
	buffer_load_dword v1, off, s[36:39], 0 offset:996
	;; [unrolled: 1-line block ×4, first 2 shown]
	s_waitcnt vmcnt(2)
	v_mov_b32_e32 v103, v1
	v_mov_b32_e32 v102, v0
	buffer_store_dword v102, off, s[36:39], 0 offset:992 ; 4-byte Folded Spill
	buffer_store_dword v103, off, s[36:39], 0 offset:996 ; 4-byte Folded Spill
	s_clause 0x3
	buffer_load_dword v6, off, s[36:39], 0 offset:1000
	buffer_load_dword v7, off, s[36:39], 0 offset:1004
	;; [unrolled: 1-line block ×4, first 2 shown]
	s_waitcnt vmcnt(4)
	v_fma_f64 v[58:59], v[70:71], v[0:1], v[58:59]
	s_waitcnt vmcnt(2)
	v_mov_b32_e32 v91, v7
	v_mov_b32_e32 v90, v6
	s_waitcnt vmcnt(0)
	v_fma_f64 v[0:1], v[72:73], v[6:7], v[58:59]
	buffer_store_dword v90, off, s[36:39], 0 offset:1000 ; 4-byte Folded Spill
	buffer_store_dword v91, off, s[36:39], 0 offset:1004 ; 4-byte Folded Spill
	buffer_store_dword v0, off, s[36:39], 0 offset:1712 ; 4-byte Folded Spill
	buffer_store_dword v1, off, s[36:39], 0 offset:1716 ; 4-byte Folded Spill
	s_clause 0x5
	buffer_load_dword v0, off, s[36:39], 0 offset:896
	buffer_load_dword v1, off, s[36:39], 0 offset:900
	;; [unrolled: 1-line block ×6, first 2 shown]
	v_fma_f64 v[58:59], v[48:49], v[82:83], 0
	s_waitcnt vmcnt(4)
	v_fma_f64 v[58:59], v[38:39], v[0:1], v[58:59]
	s_waitcnt vmcnt(2)
	;; [unrolled: 2-line block ×3, first 2 shown]
	v_fma_f64 v[58:59], v[8:9], v[46:47], v[58:59]
	buffer_store_dword v46, off, s[36:39], 0 offset:512 ; 4-byte Folded Spill
	buffer_store_dword v47, off, s[36:39], 0 offset:516 ; 4-byte Folded Spill
	s_clause 0x1
	buffer_load_dword v24, off, s[36:39], 0 offset:960
	buffer_load_dword v25, off, s[36:39], 0 offset:964
	s_waitcnt vmcnt(0)
	v_fma_f64 v[58:59], v[52:53], v[24:25], v[58:59]
	buffer_store_dword v24, off, s[36:39], 0 offset:960 ; 4-byte Folded Spill
	buffer_store_dword v25, off, s[36:39], 0 offset:964 ; 4-byte Folded Spill
	s_clause 0x3
	buffer_load_dword v50, off, s[36:39], 0 offset:560
	buffer_load_dword v51, off, s[36:39], 0 offset:564
	;; [unrolled: 1-line block ×4, first 2 shown]
	s_waitcnt vmcnt(2)
	v_fma_f64 v[58:59], v[54:55], v[50:51], v[58:59]
	s_waitcnt vmcnt(0)
	v_mov_b32_e32 v113, v1
	v_mov_b32_e32 v112, v0
	buffer_store_dword v112, off, s[36:39], 0 offset:576 ; 4-byte Folded Spill
	buffer_store_dword v113, off, s[36:39], 0 offset:580 ; 4-byte Folded Spill
	s_clause 0x1
	buffer_load_dword v6, off, s[36:39], 0 offset:1160
	buffer_load_dword v7, off, s[36:39], 0 offset:1164
	v_fma_f64 v[58:59], v[70:71], v[0:1], v[58:59]
	s_waitcnt vmcnt(0)
	v_fma_f64 v[0:1], v[72:73], v[6:7], v[58:59]
	buffer_store_dword v0, off, s[36:39], 0 offset:1720 ; 4-byte Folded Spill
	buffer_store_dword v1, off, s[36:39], 0 offset:1724 ; 4-byte Folded Spill
	s_clause 0x3
	buffer_load_dword v0, off, s[36:39], 0 offset:432
	buffer_load_dword v1, off, s[36:39], 0 offset:436
	;; [unrolled: 1-line block ×4, first 2 shown]
	v_fma_f64 v[58:59], v[48:49], v[42:43], 0
	v_mov_b32_e32 v67, v7
	v_mov_b32_e32 v66, v6
	s_waitcnt vmcnt(2)
	v_fma_f64 v[58:59], v[38:39], v[0:1], v[58:59]
	s_waitcnt vmcnt(0)
	v_fma_f64 v[58:59], v[56:57], v[116:117], v[58:59]
	buffer_store_dword v116, off, s[36:39], 0 offset:448 ; 4-byte Folded Spill
	buffer_store_dword v117, off, s[36:39], 0 offset:452 ; 4-byte Folded Spill
	s_clause 0x1
	buffer_load_dword v92, off, s[36:39], 0 offset:464
	buffer_load_dword v93, off, s[36:39], 0 offset:468
	s_waitcnt vmcnt(0)
	v_fma_f64 v[58:59], v[8:9], v[92:93], v[58:59]
	buffer_store_dword v92, off, s[36:39], 0 offset:464 ; 4-byte Folded Spill
	buffer_store_dword v93, off, s[36:39], 0 offset:468 ; 4-byte Folded Spill
	s_clause 0x5
	buffer_load_dword v100, off, s[36:39], 0 offset:912
	buffer_load_dword v101, off, s[36:39], 0 offset:916
	;; [unrolled: 1-line block ×6, first 2 shown]
	s_waitcnt vmcnt(4)
	v_fma_f64 v[58:59], v[52:53], v[100:101], v[58:59]
	s_waitcnt vmcnt(2)
	v_fma_f64 v[58:59], v[54:55], v[64:65], v[58:59]
	;; [unrolled: 2-line block ×3, first 2 shown]
	buffer_store_dword v28, off, s[36:39], 0 offset:528 ; 4-byte Folded Spill
	buffer_store_dword v29, off, s[36:39], 0 offset:532 ; 4-byte Folded Spill
	s_clause 0x1
	buffer_load_dword v0, off, s[36:39], 0 offset:544
	buffer_load_dword v1, off, s[36:39], 0 offset:548
	s_waitcnt vmcnt(0)
	v_fma_f64 v[0:1], v[72:73], v[0:1], v[58:59]
	buffer_store_dword v0, off, s[36:39], 0 offset:1824 ; 4-byte Folded Spill
	buffer_store_dword v1, off, s[36:39], 0 offset:1828 ; 4-byte Folded Spill
	s_clause 0x1
	buffer_load_dword v60, off, s[36:39], 0 offset:1128
	buffer_load_dword v61, off, s[36:39], 0 offset:1132
	v_fma_f64 v[58:59], v[48:49], v[34:35], 0
	s_waitcnt vmcnt(0)
	v_fma_f64 v[58:59], v[38:39], v[60:61], v[58:59]
	buffer_store_dword v60, off, s[36:39], 0 offset:1128 ; 4-byte Folded Spill
	buffer_store_dword v61, off, s[36:39], 0 offset:1132 ; 4-byte Folded Spill
	s_clause 0x3
	buffer_load_dword v96, off, s[36:39], 0 offset:1584
	buffer_load_dword v97, off, s[36:39], 0 offset:1588
	;; [unrolled: 1-line block ×4, first 2 shown]
	s_waitcnt vmcnt(2)
	v_fma_f64 v[58:59], v[56:57], v[96:97], v[58:59]
	s_waitcnt vmcnt(0)
	v_fma_f64 v[58:59], v[8:9], v[32:33], v[58:59]
	buffer_store_dword v32, off, s[36:39], 0 offset:1144 ; 4-byte Folded Spill
	buffer_store_dword v33, off, s[36:39], 0 offset:1148 ; 4-byte Folded Spill
	s_clause 0x1
	buffer_load_dword v0, off, s[36:39], 0 offset:864
	buffer_load_dword v1, off, s[36:39], 0 offset:868
	s_waitcnt vmcnt(0)
	v_mov_b32_e32 v121, v1
	v_fma_f64 v[58:59], v[52:53], v[0:1], v[58:59]
	v_mov_b32_e32 v120, v0
	s_clause 0x1
	buffer_load_dword v0, off, s[36:39], 0 offset:880
	buffer_load_dword v1, off, s[36:39], 0 offset:884
	s_waitcnt vmcnt(0)
	v_fma_f64 v[58:59], v[54:55], v[0:1], v[58:59]
	s_clause 0x3
	buffer_load_dword v0, off, s[36:39], 0 offset:480
	buffer_load_dword v1, off, s[36:39], 0 offset:484
	;; [unrolled: 1-line block ×4, first 2 shown]
	s_waitcnt vmcnt(2)
	v_fma_f64 v[58:59], v[70:71], v[0:1], v[58:59]
	s_waitcnt vmcnt(0)
	v_fma_f64 v[0:1], v[72:73], v[18:19], v[58:59]
	buffer_store_dword v18, off, s[36:39], 0 offset:496 ; 4-byte Folded Spill
	buffer_store_dword v19, off, s[36:39], 0 offset:500 ; 4-byte Folded Spill
	;; [unrolled: 1-line block ×4, first 2 shown]
	s_clause 0x1
	buffer_load_dword v0, off, s[36:39], 0 offset:768
	buffer_load_dword v1, off, s[36:39], 0 offset:772
	v_fma_f64 v[58:59], v[48:49], v[22:23], 0
	s_waitcnt vmcnt(0)
	v_mov_b32_e32 v99, v1
	v_mov_b32_e32 v98, v0
	buffer_store_dword v98, off, s[36:39], 0 offset:768 ; 4-byte Folded Spill
	buffer_store_dword v99, off, s[36:39], 0 offset:772 ; 4-byte Folded Spill
	v_fma_f64 v[58:59], v[38:39], v[0:1], v[58:59]
	s_clause 0x1
	buffer_load_dword v0, off, s[36:39], 0 offset:784
	buffer_load_dword v1, off, s[36:39], 0 offset:788
	s_waitcnt vmcnt(0)
	v_fma_f64 v[58:59], v[56:57], v[0:1], v[58:59]
	s_clause 0x3
	buffer_load_dword v0, off, s[36:39], 0 offset:416
	buffer_load_dword v1, off, s[36:39], 0 offset:420
	;; [unrolled: 1-line block ×4, first 2 shown]
	s_waitcnt vmcnt(2)
	v_fma_f64 v[58:59], v[8:9], v[0:1], v[58:59]
	s_waitcnt vmcnt(0)
	v_fma_f64 v[58:59], v[52:53], v[88:89], v[58:59]
	buffer_store_dword v88, off, s[36:39], 0 offset:800 ; 4-byte Folded Spill
	buffer_store_dword v89, off, s[36:39], 0 offset:804 ; 4-byte Folded Spill
	s_clause 0x1
	buffer_load_dword v30, off, s[36:39], 0 offset:832
	buffer_load_dword v31, off, s[36:39], 0 offset:836
	s_waitcnt vmcnt(0)
	v_fma_f64 v[58:59], v[54:55], v[30:31], v[58:59]
	buffer_store_dword v30, off, s[36:39], 0 offset:832 ; 4-byte Folded Spill
	buffer_store_dword v31, off, s[36:39], 0 offset:836 ; 4-byte Folded Spill
	s_clause 0x1
	buffer_load_dword v26, off, s[36:39], 0 offset:848
	buffer_load_dword v27, off, s[36:39], 0 offset:852
	;; [unrolled: 7-line block ×3, first 2 shown]
	s_waitcnt vmcnt(0)
	v_fma_f64 v[0:1], v[72:73], v[0:1], v[58:59]
	buffer_store_dword v0, off, s[36:39], 0 offset:1832 ; 4-byte Folded Spill
	buffer_store_dword v1, off, s[36:39], 0 offset:1836 ; 4-byte Folded Spill
	buffer_store_dword v20, off, s[36:39], 0 offset:1976 ; 4-byte Folded Spill
	buffer_store_dword v21, off, s[36:39], 0 offset:1980 ; 4-byte Folded Spill
	s_clause 0x7
	buffer_load_dword v10, off, s[36:39], 0 offset:608
	buffer_load_dword v11, off, s[36:39], 0 offset:612
	;; [unrolled: 1-line block ×8, first 2 shown]
	v_fma_f64 v[58:59], v[48:49], v[20:21], 0
	s_waitcnt vmcnt(6)
	v_fma_f64 v[58:59], v[38:39], v[10:11], v[58:59]
	s_waitcnt vmcnt(4)
	;; [unrolled: 2-line block ×3, first 2 shown]
	v_fma_f64 v[58:59], v[8:9], v[0:1], v[58:59]
	s_clause 0x3
	buffer_load_dword v0, off, s[36:39], 0 offset:256
	buffer_load_dword v1, off, s[36:39], 0 offset:260
	;; [unrolled: 1-line block ×4, first 2 shown]
	s_waitcnt vmcnt(4)
	v_fma_f64 v[58:59], v[52:53], v[84:85], v[58:59]
	s_waitcnt vmcnt(2)
	v_fma_f64 v[58:59], v[54:55], v[0:1], v[58:59]
	s_clause 0x1
	buffer_load_dword v0, off, s[36:39], 0 offset:816
	buffer_load_dword v1, off, s[36:39], 0 offset:820
	s_waitcnt vmcnt(2)
	v_fma_f64 v[58:59], v[70:71], v[104:105], v[58:59]
	s_waitcnt vmcnt(0)
	v_fma_f64 v[0:1], v[72:73], v[0:1], v[58:59]
	buffer_store_dword v0, off, s[36:39], 0 offset:1840 ; 4-byte Folded Spill
	buffer_store_dword v1, off, s[36:39], 0 offset:1844 ; 4-byte Folded Spill
	s_clause 0x7
	buffer_load_dword v126, off, s[36:39], 0 offset:1512
	buffer_load_dword v127, off, s[36:39], 0 offset:1516
	;; [unrolled: 1-line block ×8, first 2 shown]
	v_fma_f64 v[58:59], v[48:49], v[16:17], 0
	s_waitcnt vmcnt(6)
	v_fma_f64 v[58:59], v[38:39], v[126:127], v[58:59]
	s_waitcnt vmcnt(4)
	v_fma_f64 v[58:59], v[56:57], v[12:13], v[58:59]
	s_waitcnt vmcnt(2)
	v_fma_f64 v[58:59], v[8:9], v[118:119], v[58:59]
	s_waitcnt vmcnt(0)
	v_fma_f64 v[58:59], v[52:53], v[0:1], v[58:59]
	s_clause 0x1
	buffer_load_dword v0, off, s[36:39], 0 offset:1112
	buffer_load_dword v1, off, s[36:39], 0 offset:1116
	s_waitcnt vmcnt(0)
	v_mov_b32_e32 v109, v1
	v_mov_b32_e32 v108, v0
	buffer_store_dword v108, off, s[36:39], 0 offset:1112 ; 4-byte Folded Spill
	buffer_store_dword v109, off, s[36:39], 0 offset:1116 ; 4-byte Folded Spill
	s_clause 0x1
	buffer_load_dword v114, off, s[36:39], 0 offset:1568
	buffer_load_dword v115, off, s[36:39], 0 offset:1572
	v_fma_f64 v[58:59], v[54:55], v[0:1], v[58:59]
	s_clause 0x1
	buffer_load_dword v0, off, s[36:39], 0 offset:400
	buffer_load_dword v1, off, s[36:39], 0 offset:404
	s_waitcnt vmcnt(2)
	v_fma_f64 v[58:59], v[70:71], v[114:115], v[58:59]
	s_waitcnt vmcnt(0)
	v_fma_f64 v[0:1], v[72:73], v[0:1], v[58:59]
	buffer_store_dword v0, off, s[36:39], 0 offset:1848 ; 4-byte Folded Spill
	buffer_store_dword v1, off, s[36:39], 0 offset:1852 ; 4-byte Folded Spill
	;; [unrolled: 1-line block ×4, first 2 shown]
	s_clause 0xb
	buffer_load_dword v124, off, s[36:39], 0 offset:1192
	buffer_load_dword v125, off, s[36:39], 0 offset:1196
	;; [unrolled: 1-line block ×12, first 2 shown]
	v_fma_f64 v[58:59], v[48:49], v[14:15], 0
	s_waitcnt vmcnt(10)
	v_fma_f64 v[58:59], v[38:39], v[124:125], v[58:59]
	s_waitcnt vmcnt(8)
	v_fma_f64 v[58:59], v[56:57], v[40:41], v[58:59]
	s_clause 0x1
	buffer_load_dword v56, off, s[36:39], 0 offset:1176
	buffer_load_dword v57, off, s[36:39], 0 offset:1180
	s_waitcnt vmcnt(8)
	v_fma_f64 v[58:59], v[8:9], v[80:81], v[58:59]
	s_waitcnt vmcnt(6)
	v_fma_f64 v[48:49], v[52:53], v[74:75], v[58:59]
	v_mov_b32_e32 v58, v82
	v_mov_b32_e32 v59, v83
	;; [unrolled: 1-line block ×6, first 2 shown]
	s_waitcnt vmcnt(4)
	v_fma_f64 v[48:49], v[54:55], v[68:69], v[48:49]
	s_waitcnt vmcnt(2)
	v_fma_f64 v[48:49], v[70:71], v[62:63], v[48:49]
	s_waitcnt vmcnt(0)
	v_fma_f64 v[0:1], v[72:73], v[56:57], v[48:49]
	buffer_store_dword v0, off, s[36:39], 0 offset:1704 ; 4-byte Folded Spill
	buffer_store_dword v1, off, s[36:39], 0 offset:1708 ; 4-byte Folded Spill
	s_clause 0x7
	buffer_load_dword v72, off, s[36:39], 0 offset:1448
	buffer_load_dword v73, off, s[36:39], 0 offset:1452
	buffer_load_dword v70, off, s[36:39], 0 offset:1664
	buffer_load_dword v71, off, s[36:39], 0 offset:1668
	buffer_load_dword v2, off, s[36:39], 0 offset:1456
	buffer_load_dword v3, off, s[36:39], 0 offset:1460
	buffer_load_dword v4, off, s[36:39], 0 offset:1672
	buffer_load_dword v5, off, s[36:39], 0 offset:1676
	s_waitcnt vmcnt(6)
	v_fma_f64 v[48:49], v[72:73], v[94:95], 0
	v_mov_b32_e32 v95, v45
	v_mov_b32_e32 v94, v44
	s_waitcnt vmcnt(4)
	v_fma_f64 v[48:49], v[70:71], v[78:79], v[48:49]
	s_waitcnt vmcnt(2)
	v_fma_f64 v[48:49], v[2:3], v[44:45], v[48:49]
	v_mov_b32_e32 v45, v37
	v_mov_b32_e32 v44, v36
	buffer_store_dword v44, off, s[36:39], 0 offset:976 ; 4-byte Folded Spill
	buffer_store_dword v45, off, s[36:39], 0 offset:980 ; 4-byte Folded Spill
	s_clause 0x7
	buffer_load_dword v38, off, s[36:39], 0 offset:1680
	buffer_load_dword v39, off, s[36:39], 0 offset:1684
	;; [unrolled: 1-line block ×8, first 2 shown]
	s_waitcnt vmcnt(8)
	v_fma_f64 v[48:49], v[4:5], v[44:45], v[48:49]
	s_waitcnt vmcnt(6)
	v_fma_f64 v[48:49], v[38:39], v[86:87], v[48:49]
	v_mov_b32_e32 v87, v65
	v_mov_b32_e32 v86, v64
	s_waitcnt vmcnt(4)
	v_fma_f64 v[48:49], v[6:7], v[106:107], v[48:49]
	s_waitcnt vmcnt(2)
	v_fma_f64 v[48:49], v[8:9], v[102:103], v[48:49]
	s_waitcnt vmcnt(0)
	v_fma_f64 v[0:1], v[78:79], v[90:91], v[48:49]
	buffer_store_dword v0, off, s[36:39], 0 offset:1696 ; 4-byte Folded Spill
	buffer_store_dword v1, off, s[36:39], 0 offset:1700 ; 4-byte Folded Spill
	;; [unrolled: 1-line block ×4, first 2 shown]
	s_clause 0x1
	buffer_load_dword v36, off, s[36:39], 0 offset:896
	buffer_load_dword v37, off, s[36:39], 0 offset:900
	v_fma_f64 v[48:49], v[72:73], v[58:59], 0
	s_waitcnt vmcnt(0)
	v_fma_f64 v[48:49], v[70:71], v[36:37], v[48:49]
	v_fma_f64 v[48:49], v[2:3], v[76:77], v[48:49]
	v_fma_f64 v[48:49], v[4:5], v[46:47], v[48:49]
	v_mov_b32_e32 v46, v50
	v_mov_b32_e32 v47, v51
	buffer_store_dword v46, off, s[36:39], 0 offset:560 ; 4-byte Folded Spill
	buffer_store_dword v47, off, s[36:39], 0 offset:564 ; 4-byte Folded Spill
	v_mov_b32_e32 v50, v66
	v_mov_b32_e32 v51, v67
	v_fma_f64 v[48:49], v[38:39], v[24:25], v[48:49]
	v_mov_b32_e32 v24, v100
	v_mov_b32_e32 v25, v101
	v_fma_f64 v[48:49], v[6:7], v[46:47], v[48:49]
	v_fma_f64 v[48:49], v[8:9], v[112:113], v[48:49]
	v_mov_b32_e32 v112, v120
	v_mov_b32_e32 v113, v121
	;; [unrolled: 1-line block ×4, first 2 shown]
	v_fma_f64 v[0:1], v[78:79], v[66:67], v[48:49]
	buffer_store_dword v50, off, s[36:39], 0 offset:1160 ; 4-byte Folded Spill
	buffer_store_dword v51, off, s[36:39], 0 offset:1164 ; 4-byte Folded Spill
	;; [unrolled: 1-line block ×4, first 2 shown]
	s_clause 0x1
	buffer_load_dword v76, off, s[36:39], 0 offset:432
	buffer_load_dword v77, off, s[36:39], 0 offset:436
	buffer_store_dword v24, off, s[36:39], 0 offset:912 ; 4-byte Folded Spill
	buffer_store_dword v25, off, s[36:39], 0 offset:916 ; 4-byte Folded Spill
	s_clause 0x1
	buffer_load_dword v122, off, s[36:39], 0 offset:544
	buffer_load_dword v123, off, s[36:39], 0 offset:548
	v_fma_f64 v[48:49], v[72:73], v[42:43], 0
	s_waitcnt vmcnt(2)
	v_fma_f64 v[48:49], v[70:71], v[76:77], v[48:49]
	v_fma_f64 v[48:49], v[2:3], v[116:117], v[48:49]
	;; [unrolled: 1-line block ×3, first 2 shown]
	v_mov_b32_e32 v92, v96
	v_mov_b32_e32 v93, v97
	v_fma_f64 v[48:49], v[38:39], v[100:101], v[48:49]
	v_fma_f64 v[48:49], v[6:7], v[64:65], v[48:49]
	v_mov_b32_e32 v64, v82
	v_mov_b32_e32 v65, v83
	v_fma_f64 v[48:49], v[8:9], v[28:29], v[48:49]
	s_waitcnt vmcnt(0)
	v_fma_f64 v[0:1], v[78:79], v[122:123], v[48:49]
	buffer_store_dword v0, off, s[36:39], 0 offset:1872 ; 4-byte Folded Spill
	buffer_store_dword v1, off, s[36:39], 0 offset:1876 ; 4-byte Folded Spill
	;; [unrolled: 1-line block ×4, first 2 shown]
	v_fma_f64 v[48:49], v[72:73], v[34:35], 0
	s_clause 0x1
	buffer_load_dword v54, off, s[36:39], 0 offset:880
	buffer_load_dword v55, off, s[36:39], 0 offset:884
	v_fma_f64 v[48:49], v[70:71], v[60:61], v[48:49]
	s_clause 0x1
	buffer_load_dword v60, off, s[36:39], 0 offset:480
	buffer_load_dword v61, off, s[36:39], 0 offset:484
	v_fma_f64 v[48:49], v[2:3], v[96:97], v[48:49]
	v_mov_b32_e32 v97, v95
	v_mov_b32_e32 v96, v94
	v_fma_f64 v[48:49], v[4:5], v[32:33], v[48:49]
	v_fma_f64 v[48:49], v[38:39], v[112:113], v[48:49]
	s_waitcnt vmcnt(2)
	v_fma_f64 v[48:49], v[6:7], v[54:55], v[48:49]
	s_waitcnt vmcnt(0)
	v_fma_f64 v[48:49], v[8:9], v[60:61], v[48:49]
	v_fma_f64 v[0:1], v[78:79], v[18:19], v[48:49]
	buffer_store_dword v0, off, s[36:39], 0 offset:1472 ; 4-byte Folded Spill
	buffer_store_dword v1, off, s[36:39], 0 offset:1476 ; 4-byte Folded Spill
	;; [unrolled: 1-line block ×4, first 2 shown]
	s_clause 0x5
	buffer_load_dword v66, off, s[36:39], 0 offset:784
	buffer_load_dword v67, off, s[36:39], 0 offset:788
	;; [unrolled: 1-line block ×6, first 2 shown]
	v_fma_f64 v[48:49], v[72:73], v[22:23], 0
	v_fma_f64 v[48:49], v[70:71], v[98:99], v[48:49]
	s_waitcnt vmcnt(4)
	v_fma_f64 v[48:49], v[2:3], v[66:67], v[48:49]
	s_waitcnt vmcnt(2)
	v_fma_f64 v[48:49], v[4:5], v[106:107], v[48:49]
	v_fma_f64 v[48:49], v[38:39], v[88:89], v[48:49]
	v_mov_b32_e32 v89, v87
	v_mov_b32_e32 v88, v86
	v_fma_f64 v[48:49], v[6:7], v[30:31], v[48:49]
	v_fma_f64 v[48:49], v[8:9], v[26:27], v[48:49]
	;; [unrolled: 1-line block ×3, first 2 shown]
	s_waitcnt vmcnt(0)
	v_fma_f64 v[0:1], v[78:79], v[116:117], v[48:49]
	buffer_store_dword v0, off, s[36:39], 0 offset:1480 ; 4-byte Folded Spill
	buffer_store_dword v1, off, s[36:39], 0 offset:1484 ; 4-byte Folded Spill
	s_clause 0x5
	buffer_load_dword v100, off, s[36:39], 0 offset:752
	buffer_load_dword v101, off, s[36:39], 0 offset:756
	;; [unrolled: 1-line block ×6, first 2 shown]
	v_fma_f64 v[48:49], v[72:73], v[20:21], 0
	v_fma_f64 v[26:27], v[70:71], v[124:125], v[26:27]
	v_mov_b32_e32 v125, v41
	v_mov_b32_e32 v124, v40
	v_fma_f64 v[48:49], v[70:71], v[10:11], v[48:49]
	v_mov_b32_e32 v10, v16
	v_mov_b32_e32 v11, v17
	v_fma_f64 v[26:27], v[2:3], v[40:41], v[26:27]
	v_fma_f64 v[48:49], v[2:3], v[110:111], v[48:49]
	;; [unrolled: 1-line block ×6, first 2 shown]
	s_waitcnt vmcnt(4)
	v_fma_f64 v[48:49], v[4:5], v[100:101], v[48:49]
	v_fma_f64 v[48:49], v[38:39], v[84:85], v[48:49]
	s_waitcnt vmcnt(2)
	v_fma_f64 v[48:49], v[6:7], v[32:33], v[48:49]
	v_fma_f64 v[48:49], v[8:9], v[104:105], v[48:49]
	s_waitcnt vmcnt(0)
	v_fma_f64 v[0:1], v[78:79], v[18:19], v[48:49]
	buffer_store_dword v0, off, s[36:39], 0 offset:1488 ; 4-byte Folded Spill
	buffer_store_dword v1, off, s[36:39], 0 offset:1492 ; 4-byte Folded Spill
	;; [unrolled: 1-line block ×4, first 2 shown]
	s_clause 0x3
	buffer_load_dword v20, off, s[36:39], 0 offset:736
	buffer_load_dword v21, off, s[36:39], 0 offset:740
	;; [unrolled: 1-line block ×4, first 2 shown]
	v_fma_f64 v[48:49], v[72:73], v[16:17], 0
	v_fma_f64 v[48:49], v[70:71], v[126:127], v[48:49]
	;; [unrolled: 1-line block ×4, first 2 shown]
	s_waitcnt vmcnt(2)
	v_fma_f64 v[48:49], v[38:39], v[20:21], v[48:49]
	v_mov_b32_e32 v38, v118
	v_mov_b32_e32 v39, v119
	;; [unrolled: 1-line block ×4, first 2 shown]
	v_fma_f64 v[48:49], v[6:7], v[108:109], v[48:49]
	v_fma_f64 v[48:49], v[8:9], v[114:115], v[48:49]
	s_waitcnt vmcnt(0)
	v_fma_f64 v[0:1], v[78:79], v[30:31], v[48:49]
	buffer_store_dword v0, off, s[36:39], 0 offset:1688 ; 4-byte Folded Spill
	buffer_store_dword v1, off, s[36:39], 0 offset:1692 ; 4-byte Folded Spill
	v_fma_f64 v[0:1], v[78:79], v[56:57], v[26:27]
	buffer_store_dword v0, off, s[36:39], 0 offset:1448 ; 4-byte Folded Spill
	buffer_store_dword v1, off, s[36:39], 0 offset:1452 ; 4-byte Folded Spill
	s_clause 0x1b
	buffer_load_dword v16, off, s[36:39], 0 offset:1424
	buffer_load_dword v17, off, s[36:39], 0 offset:1428
	;; [unrolled: 1-line block ×28, first 2 shown]
	v_mov_b32_e32 v78, v110
	v_mov_b32_e32 v79, v111
	s_waitcnt vmcnt(24)
	v_fma_f64 v[26:27], v[16:17], v[62:63], 0
	s_waitcnt vmcnt(20)
	v_fma_f64 v[26:27], v[14:15], v[108:109], v[26:27]
	;; [unrolled: 2-line block ×4, first 2 shown]
	v_mov_b32_e32 v45, v43
	v_mov_b32_e32 v44, v42
	s_waitcnt vmcnt(12)
	v_fma_f64 v[26:27], v[72:73], v[84:85], v[26:27]
	s_waitcnt vmcnt(8)
	v_fma_f64 v[26:27], v[2:3], v[102:103], v[26:27]
	;; [unrolled: 2-line block ×4, first 2 shown]
	buffer_store_dword v0, off, s[36:39], 0 offset:1664 ; 4-byte Folded Spill
	buffer_store_dword v1, off, s[36:39], 0 offset:1668 ; 4-byte Folded Spill
	s_clause 0x5
	buffer_load_dword v0, off, s[36:39], 0 offset:512
	buffer_load_dword v1, off, s[36:39], 0 offset:516
	;; [unrolled: 1-line block ×6, first 2 shown]
	v_fma_f64 v[26:27], v[16:17], v[58:59], 0
	v_fma_f64 v[26:27], v[14:15], v[36:37], v[26:27]
	;; [unrolled: 1-line block ×3, first 2 shown]
	s_waitcnt vmcnt(4)
	v_fma_f64 v[26:27], v[70:71], v[0:1], v[26:27]
	s_waitcnt vmcnt(2)
	v_fma_f64 v[26:27], v[72:73], v[8:9], v[26:27]
	v_fma_f64 v[26:27], v[2:3], v[46:47], v[26:27]
	s_waitcnt vmcnt(0)
	v_fma_f64 v[26:27], v[4:5], v[28:29], v[26:27]
	v_fma_f64 v[0:1], v[6:7], v[50:51], v[26:27]
	buffer_store_dword v0, off, s[36:39], 0 offset:1672 ; 4-byte Folded Spill
	buffer_store_dword v1, off, s[36:39], 0 offset:1676 ; 4-byte Folded Spill
	;; [unrolled: 1-line block ×4, first 2 shown]
	s_clause 0x5
	buffer_load_dword v50, off, s[36:39], 0 offset:448
	buffer_load_dword v51, off, s[36:39], 0 offset:452
	;; [unrolled: 1-line block ×6, first 2 shown]
	v_fma_f64 v[26:27], v[16:17], v[42:43], 0
	v_fma_f64 v[26:27], v[14:15], v[76:77], v[26:27]
	s_waitcnt vmcnt(4)
	v_fma_f64 v[26:27], v[22:23], v[50:51], v[26:27]
	s_waitcnt vmcnt(2)
	v_fma_f64 v[26:27], v[70:71], v[68:69], v[26:27]
	v_fma_f64 v[26:27], v[72:73], v[24:25], v[26:27]
	v_mov_b32_e32 v24, v98
	v_mov_b32_e32 v25, v99
	v_fma_f64 v[26:27], v[2:3], v[88:89], v[26:27]
	s_waitcnt vmcnt(0)
	v_fma_f64 v[26:27], v[4:5], v[0:1], v[26:27]
	v_fma_f64 v[0:1], v[6:7], v[122:123], v[26:27]
	buffer_store_dword v0, off, s[36:39], 0 offset:1456 ; 4-byte Folded Spill
	buffer_store_dword v1, off, s[36:39], 0 offset:1460 ; 4-byte Folded Spill
	s_clause 0x5
	buffer_load_dword v40, off, s[36:39], 0 offset:1128
	buffer_load_dword v41, off, s[36:39], 0 offset:1132
	;; [unrolled: 1-line block ×6, first 2 shown]
	v_fma_f64 v[26:27], v[16:17], v[34:35], 0
	v_mov_b32_e32 v123, v35
	v_mov_b32_e32 v122, v34
	s_waitcnt vmcnt(4)
	v_fma_f64 v[26:27], v[14:15], v[40:41], v[26:27]
	v_fma_f64 v[26:27], v[22:23], v[92:93], v[26:27]
	s_waitcnt vmcnt(2)
	v_fma_f64 v[26:27], v[70:71], v[80:81], v[26:27]
	v_fma_f64 v[26:27], v[72:73], v[112:113], v[26:27]
	v_mov_b32_e32 v113, v65
	v_mov_b32_e32 v112, v64
	v_fma_f64 v[26:27], v[2:3], v[54:55], v[26:27]
	v_fma_f64 v[26:27], v[4:5], v[60:61], v[26:27]
	v_mov_b32_e32 v60, v108
	v_mov_b32_e32 v61, v109
	;; [unrolled: 1-line block ×4, first 2 shown]
	s_waitcnt vmcnt(0)
	v_fma_f64 v[0:1], v[6:7], v[82:83], v[26:27]
	buffer_store_dword v0, off, s[36:39], 0 offset:1464 ; 4-byte Folded Spill
	buffer_store_dword v1, off, s[36:39], 0 offset:1468 ; 4-byte Folded Spill
	s_clause 0x7
	buffer_load_dword v86, off, s[36:39], 0 offset:768
	buffer_load_dword v87, off, s[36:39], 0 offset:772
	;; [unrolled: 1-line block ×8, first 2 shown]
	v_fma_f64 v[26:27], v[16:17], v[52:53], 0
	s_waitcnt vmcnt(6)
	v_fma_f64 v[26:27], v[14:15], v[86:87], v[26:27]
	v_fma_f64 v[26:27], v[22:23], v[66:67], v[26:27]
	;; [unrolled: 1-line block ×3, first 2 shown]
	s_waitcnt vmcnt(4)
	v_fma_f64 v[26:27], v[72:73], v[48:49], v[26:27]
	s_waitcnt vmcnt(2)
	v_fma_f64 v[26:27], v[2:3], v[46:47], v[26:27]
	;; [unrolled: 2-line block ×3, first 2 shown]
	v_fma_f64 v[0:1], v[6:7], v[116:117], v[26:27]
	buffer_store_dword v0, off, s[36:39], 0 offset:1680 ; 4-byte Folded Spill
	buffer_store_dword v1, off, s[36:39], 0 offset:1684 ; 4-byte Folded Spill
	s_clause 0x3
	buffer_load_dword v94, off, s[36:39], 0 offset:1976
	buffer_load_dword v95, off, s[36:39], 0 offset:1980
	;; [unrolled: 1-line block ×4, first 2 shown]
	s_waitcnt vmcnt(2)
	v_fma_f64 v[26:27], v[16:17], v[94:95], 0
	s_waitcnt vmcnt(0)
	v_fma_f64 v[26:27], v[14:15], v[76:77], v[26:27]
	v_fma_f64 v[26:27], v[22:23], v[78:79], v[26:27]
	;; [unrolled: 1-line block ×3, first 2 shown]
	v_mov_b32_e32 v101, v97
	v_mov_b32_e32 v100, v96
	v_fma_f64 v[26:27], v[72:73], v[120:121], v[26:27]
	v_fma_f64 v[26:27], v[2:3], v[32:33], v[26:27]
	v_mov_b32_e32 v32, v54
	v_mov_b32_e32 v33, v55
	v_fma_f64 v[26:27], v[4:5], v[104:105], v[26:27]
	v_fma_f64 v[0:1], v[6:7], v[18:19], v[26:27]
	buffer_store_dword v0, off, s[36:39], 0 offset:1880 ; 4-byte Folded Spill
	buffer_store_dword v1, off, s[36:39], 0 offset:1884 ; 4-byte Folded Spill
	;; [unrolled: 1-line block ×4, first 2 shown]
	s_clause 0x1
	buffer_load_dword v110, off, s[36:39], 0 offset:1112
	buffer_load_dword v111, off, s[36:39], 0 offset:1116
	v_fma_f64 v[26:27], v[16:17], v[10:11], 0
	v_mov_b32_e32 v18, v90
	v_mov_b32_e32 v19, v91
	v_fma_f64 v[26:27], v[14:15], v[126:127], v[26:27]
	v_fma_f64 v[26:27], v[22:23], v[12:13], v[26:27]
	v_mov_b32_e32 v12, v102
	v_mov_b32_e32 v13, v103
	v_fma_f64 v[26:27], v[70:71], v[38:39], v[26:27]
	v_fma_f64 v[26:27], v[72:73], v[20:21], v[26:27]
	s_waitcnt vmcnt(0)
	v_fma_f64 v[26:27], v[2:3], v[110:111], v[26:27]
	v_fma_f64 v[26:27], v[4:5], v[114:115], v[26:27]
	;; [unrolled: 1-line block ×3, first 2 shown]
	buffer_store_dword v0, off, s[36:39], 0 offset:1888 ; 4-byte Folded Spill
	buffer_store_dword v1, off, s[36:39], 0 offset:1892 ; 4-byte Folded Spill
	s_clause 0x7
	buffer_load_dword v0, off, s[36:39], 0 offset:1208
	buffer_load_dword v1, off, s[36:39], 0 offset:1212
	;; [unrolled: 1-line block ×8, first 2 shown]
	s_waitcnt vmcnt(6)
	v_fma_f64 v[20:21], v[16:17], v[0:1], 0
	s_waitcnt vmcnt(4)
	v_fma_f64 v[16:17], v[14:15], v[30:31], v[20:21]
	s_clause 0x3
	buffer_load_dword v20, off, s[36:39], 0 offset:1504
	buffer_load_dword v21, off, s[36:39], 0 offset:1508
	;; [unrolled: 1-line block ×4, first 2 shown]
	v_fma_f64 v[16:17], v[22:23], v[124:125], v[16:17]
	s_waitcnt vmcnt(6)
	v_fma_f64 v[16:17], v[70:71], v[116:117], v[16:17]
	v_fma_f64 v[16:17], v[72:73], v[74:75], v[16:17]
	s_waitcnt vmcnt(4)
	v_fma_f64 v[16:17], v[2:3], v[106:107], v[16:17]
	s_waitcnt vmcnt(2)
	v_fma_f64 v[16:17], v[4:5], v[20:21], v[16:17]
	v_mov_b32_e32 v4, v62
	v_mov_b32_e32 v5, v63
	s_waitcnt vmcnt(0)
	v_fma_f64 v[0:1], v[6:7], v[14:15], v[16:17]
	buffer_store_dword v0, off, s[36:39], 0 offset:1424 ; 4-byte Folded Spill
	buffer_store_dword v1, off, s[36:39], 0 offset:1428 ; 4-byte Folded Spill
	s_clause 0x5
	buffer_load_dword v10, off, s[36:39], 0 offset:1408
	buffer_load_dword v11, off, s[36:39], 0 offset:1412
	;; [unrolled: 1-line block ×6, first 2 shown]
	buffer_store_dword v100, off, s[36:39], 0 offset:1152 ; 4-byte Folded Spill
	buffer_store_dword v101, off, s[36:39], 0 offset:1156 ; 4-byte Folded Spill
	s_clause 0xb
	buffer_load_dword v26, off, s[36:39], 0 offset:1616
	buffer_load_dword v27, off, s[36:39], 0 offset:1620
	buffer_load_dword v62, off, s[36:39], 0 offset:976
	buffer_load_dword v63, off, s[36:39], 0 offset:980
	buffer_load_dword v34, off, s[36:39], 0 offset:1624
	buffer_load_dword v35, off, s[36:39], 0 offset:1628
	buffer_load_dword v42, off, s[36:39], 0 offset:1632
	buffer_load_dword v43, off, s[36:39], 0 offset:1636
	buffer_load_dword v58, off, s[36:39], 0 offset:1944
	buffer_load_dword v59, off, s[36:39], 0 offset:1948
	buffer_load_dword v70, off, s[36:39], 0 offset:1952
	buffer_load_dword v71, off, s[36:39], 0 offset:1956
	s_waitcnt vmcnt(16)
	v_fma_f64 v[16:17], v[10:11], v[4:5], 0
	s_waitcnt vmcnt(14)
	v_fma_f64 v[16:17], v[2:3], v[60:61], v[16:17]
	;; [unrolled: 2-line block ×8, first 2 shown]
	buffer_store_dword v0, off, s[36:39], 0 offset:1432 ; 4-byte Folded Spill
	buffer_store_dword v1, off, s[36:39], 0 offset:1436 ; 4-byte Folded Spill
	s_clause 0x1
	buffer_load_dword v84, off, s[36:39], 0 offset:1520
	buffer_load_dword v85, off, s[36:39], 0 offset:1524
	buffer_store_dword v112, off, s[36:39], 0 offset:928 ; 4-byte Folded Spill
	buffer_store_dword v113, off, s[36:39], 0 offset:932 ; 4-byte Folded Spill
	s_clause 0x3
	buffer_load_dword v90, off, s[36:39], 0 offset:512
	buffer_load_dword v91, off, s[36:39], 0 offset:516
	;; [unrolled: 1-line block ×4, first 2 shown]
	s_waitcnt vmcnt(4)
	v_fma_f64 v[16:17], v[10:11], v[84:85], 0
	v_fma_f64 v[16:17], v[2:3], v[36:37], v[16:17]
	;; [unrolled: 1-line block ×3, first 2 shown]
	s_waitcnt vmcnt(2)
	v_fma_f64 v[16:17], v[26:27], v[90:91], v[16:17]
	v_fma_f64 v[16:17], v[34:35], v[8:9], v[16:17]
	s_clause 0x1
	buffer_load_dword v8, off, s[36:39], 0 offset:1160
	buffer_load_dword v9, off, s[36:39], 0 offset:1164
	s_waitcnt vmcnt(2)
	v_fma_f64 v[16:17], v[42:43], v[96:97], v[16:17]
	v_fma_f64 v[16:17], v[58:59], v[28:29], v[16:17]
	v_mov_b32_e32 v28, v122
	v_mov_b32_e32 v29, v123
	s_waitcnt vmcnt(0)
	v_fma_f64 v[0:1], v[70:71], v[8:9], v[16:17]
	buffer_store_dword v0, off, s[36:39], 0 offset:1440 ; 4-byte Folded Spill
	buffer_store_dword v1, off, s[36:39], 0 offset:1444 ; 4-byte Folded Spill
	s_clause 0x7
	buffer_load_dword v98, off, s[36:39], 0 offset:432
	buffer_load_dword v99, off, s[36:39], 0 offset:436
	;; [unrolled: 1-line block ×8, first 2 shown]
	v_fma_f64 v[16:17], v[10:11], v[44:45], 0
	s_waitcnt vmcnt(6)
	v_fma_f64 v[16:17], v[2:3], v[98:99], v[16:17]
	v_fma_f64 v[16:17], v[22:23], v[50:51], v[16:17]
	v_mov_b32_e32 v50, v88
	v_mov_b32_e32 v51, v89
	v_fma_f64 v[16:17], v[26:27], v[68:69], v[16:17]
	s_waitcnt vmcnt(4)
	v_fma_f64 v[16:17], v[34:35], v[52:53], v[16:17]
	v_fma_f64 v[16:17], v[42:43], v[88:89], v[16:17]
	v_mov_b32_e32 v89, v81
	v_mov_b32_e32 v88, v80
	s_waitcnt vmcnt(2)
	v_fma_f64 v[16:17], v[58:59], v[64:65], v[16:17]
	s_waitcnt vmcnt(0)
	v_fma_f64 v[0:1], v[70:71], v[102:103], v[16:17]
	buffer_store_dword v0, off, s[36:39], 0 offset:1640 ; 4-byte Folded Spill
	buffer_store_dword v1, off, s[36:39], 0 offset:1644 ; 4-byte Folded Spill
	;; [unrolled: 1-line block ×4, first 2 shown]
	s_clause 0x1
	buffer_load_dword v36, off, s[36:39], 0 offset:864
	buffer_load_dword v37, off, s[36:39], 0 offset:868
	buffer_store_dword v32, off, s[36:39], 0 offset:880 ; 4-byte Folded Spill
	buffer_store_dword v33, off, s[36:39], 0 offset:884 ; 4-byte Folded Spill
	s_clause 0x1
	buffer_load_dword v68, off, s[36:39], 0 offset:480
	buffer_load_dword v69, off, s[36:39], 0 offset:484
	v_fma_f64 v[16:17], v[10:11], v[28:29], 0
	v_fma_f64 v[16:17], v[2:3], v[40:41], v[16:17]
	v_fma_f64 v[16:17], v[22:23], v[92:93], v[16:17]
	v_fma_f64 v[16:17], v[26:27], v[80:81], v[16:17]
	v_mov_b32_e32 v80, v94
	v_mov_b32_e32 v81, v95
	s_waitcnt vmcnt(2)
	v_fma_f64 v[16:17], v[34:35], v[36:37], v[16:17]
	v_fma_f64 v[16:17], v[42:43], v[32:33], v[16:17]
	s_waitcnt vmcnt(0)
	v_fma_f64 v[16:17], v[58:59], v[68:69], v[16:17]
	v_fma_f64 v[0:1], v[70:71], v[82:83], v[16:17]
	buffer_store_dword v0, off, s[36:39], 0 offset:1648 ; 4-byte Folded Spill
	buffer_store_dword v1, off, s[36:39], 0 offset:1652 ; 4-byte Folded Spill
	s_clause 0x1
	buffer_load_dword v44, off, s[36:39], 0 offset:1968
	buffer_load_dword v45, off, s[36:39], 0 offset:1972
	buffer_store_dword v66, off, s[36:39], 0 offset:784 ; 4-byte Folded Spill
	buffer_store_dword v67, off, s[36:39], 0 offset:788 ; 4-byte Folded Spill
	s_clause 0x3
	buffer_load_dword v72, off, s[36:39], 0 offset:416
	buffer_load_dword v73, off, s[36:39], 0 offset:420
	;; [unrolled: 1-line block ×4, first 2 shown]
	v_mov_b32_e32 v83, v47
	v_mov_b32_e32 v82, v46
	s_waitcnt vmcnt(4)
	v_fma_f64 v[16:17], v[10:11], v[44:45], 0
	v_fma_f64 v[16:17], v[2:3], v[86:87], v[16:17]
	v_mov_b32_e32 v87, v49
	v_mov_b32_e32 v86, v48
	v_fma_f64 v[16:17], v[22:23], v[66:67], v[16:17]
	s_waitcnt vmcnt(2)
	v_fma_f64 v[16:17], v[26:27], v[72:73], v[16:17]
	v_fma_f64 v[16:17], v[34:35], v[48:49], v[16:17]
	;; [unrolled: 1-line block ×4, first 2 shown]
	s_waitcnt vmcnt(0)
	v_fma_f64 v[0:1], v[70:71], v[54:55], v[16:17]
	buffer_store_dword v0, off, s[36:39], 0 offset:1656 ; 4-byte Folded Spill
	buffer_store_dword v1, off, s[36:39], 0 offset:1660 ; 4-byte Folded Spill
	s_clause 0x5
	buffer_load_dword v48, off, s[36:39], 0 offset:752
	buffer_load_dword v49, off, s[36:39], 0 offset:756
	;; [unrolled: 1-line block ×6, first 2 shown]
	v_fma_f64 v[16:17], v[10:11], v[94:95], 0
	v_mov_b32_e32 v95, v93
	v_mov_b32_e32 v94, v92
	v_fma_f64 v[16:17], v[2:3], v[76:77], v[16:17]
	v_fma_f64 v[16:17], v[22:23], v[78:79], v[16:17]
	s_waitcnt vmcnt(4)
	v_fma_f64 v[16:17], v[26:27], v[48:49], v[16:17]
	v_fma_f64 v[16:17], v[34:35], v[120:121], v[16:17]
	s_waitcnt vmcnt(2)
	;; [unrolled: 3-line block ×3, first 2 shown]
	v_fma_f64 v[0:1], v[70:71], v[122:123], v[16:17]
	buffer_store_dword v0, off, s[36:39], 0 offset:1912 ; 4-byte Folded Spill
	buffer_store_dword v1, off, s[36:39], 0 offset:1916 ; 4-byte Folded Spill
	s_clause 0x5
	buffer_load_dword v46, off, s[36:39], 0 offset:1984
	buffer_load_dword v47, off, s[36:39], 0 offset:1988
	buffer_load_dword v0, off, s[36:39], 0 offset:1104
	buffer_load_dword v1, off, s[36:39], 0 offset:1108
	buffer_load_dword v6, off, s[36:39], 0 offset:400
	buffer_load_dword v7, off, s[36:39], 0 offset:404
	s_waitcnt vmcnt(4)
	v_fma_f64 v[16:17], v[10:11], v[46:47], 0
	v_fma_f64 v[16:17], v[2:3], v[126:127], v[16:17]
	s_waitcnt vmcnt(2)
	v_fma_f64 v[16:17], v[22:23], v[0:1], v[16:17]
	v_fma_f64 v[16:17], v[26:27], v[38:39], v[16:17]
	v_mov_b32_e32 v38, v68
	v_mov_b32_e32 v39, v69
	v_fma_f64 v[16:17], v[34:35], v[118:119], v[16:17]
	v_mov_b32_e32 v119, v25
	v_mov_b32_e32 v118, v24
	v_fma_f64 v[16:17], v[42:43], v[110:111], v[16:17]
	v_fma_f64 v[16:17], v[58:59], v[114:115], v[16:17]
	s_waitcnt vmcnt(0)
	v_fma_f64 v[0:1], v[70:71], v[6:7], v[16:17]
	buffer_store_dword v0, off, s[36:39], 0 offset:1920 ; 4-byte Folded Spill
	buffer_store_dword v1, off, s[36:39], 0 offset:1924 ; 4-byte Folded Spill
	s_clause 0x1
	buffer_load_dword v76, off, s[36:39], 0 offset:1208
	buffer_load_dword v77, off, s[36:39], 0 offset:1212
	s_waitcnt vmcnt(0)
	v_fma_f64 v[16:17], v[10:11], v[76:77], 0
	v_fma_f64 v[16:17], v[2:3], v[30:31], v[16:17]
	v_fma_f64 v[16:17], v[22:23], v[124:125], v[16:17]
	v_fma_f64 v[16:17], v[26:27], v[116:117], v[16:17]
	v_fma_f64 v[16:17], v[34:35], v[74:75], v[16:17]
	v_fma_f64 v[16:17], v[42:43], v[106:107], v[16:17]
	v_mov_b32_e32 v43, v15
	v_mov_b32_e32 v42, v14
	v_fma_f64 v[16:17], v[58:59], v[20:21], v[16:17]
	v_mov_b32_e32 v59, v21
	v_mov_b32_e32 v58, v20
	v_fma_f64 v[0:1], v[70:71], v[14:15], v[16:17]
	buffer_store_dword v0, off, s[36:39], 0 offset:1408 ; 4-byte Folded Spill
	buffer_store_dword v1, off, s[36:39], 0 offset:1412 ; 4-byte Folded Spill
	s_clause 0x7
	buffer_load_dword v2, off, s[36:39], 0 offset:1376
	buffer_load_dword v3, off, s[36:39], 0 offset:1380
	;; [unrolled: 1-line block ×8, first 2 shown]
	v_mov_b32_e32 v71, v65
	v_mov_b32_e32 v70, v64
	s_waitcnt vmcnt(6)
	v_fma_f64 v[16:17], v[2:3], v[4:5], 0
	s_clause 0x9
	buffer_load_dword v20, off, s[36:39], 0 offset:1600
	buffer_load_dword v21, off, s[36:39], 0 offset:1604
	;; [unrolled: 1-line block ×10, first 2 shown]
	s_waitcnt vmcnt(14)
	v_fma_f64 v[16:17], v[0:1], v[60:61], v[16:17]
	v_mov_b32_e32 v60, v108
	v_mov_b32_e32 v61, v109
	s_waitcnt vmcnt(12)
	v_fma_f64 v[16:17], v[10:11], v[100:101], v[16:17]
	s_waitcnt vmcnt(10)
	v_fma_f64 v[16:17], v[14:15], v[62:63], v[16:17]
	;; [unrolled: 2-line block ×4, first 2 shown]
	v_mov_b32_e32 v12, v90
	v_mov_b32_e32 v13, v91
	s_waitcnt vmcnt(2)
	v_fma_f64 v[16:17], v[26:27], v[18:19], v[16:17]
	s_waitcnt vmcnt(0)
	v_fma_f64 v[16:17], v[34:35], v[24:25], v[16:17]
	buffer_store_dword v16, off, s[36:39], 0 offset:1416 ; 4-byte Folded Spill
	buffer_store_dword v17, off, s[36:39], 0 offset:1420 ; 4-byte Folded Spill
	s_clause 0x3
	buffer_load_dword v106, off, s[36:39], 0 offset:960
	buffer_load_dword v107, off, s[36:39], 0 offset:964
	;; [unrolled: 1-line block ×4, first 2 shown]
	v_fma_f64 v[16:17], v[2:3], v[84:85], 0
	v_mov_b32_e32 v24, v98
	v_mov_b32_e32 v25, v99
	;; [unrolled: 1-line block ×4, first 2 shown]
	v_fma_f64 v[16:17], v[0:1], v[108:109], v[16:17]
	v_mov_b32_e32 v109, v9
	v_mov_b32_e32 v108, v8
	v_fma_f64 v[16:17], v[10:11], v[112:113], v[16:17]
	v_mov_b32_e32 v113, v73
	v_mov_b32_e32 v112, v72
	v_fma_f64 v[16:17], v[14:15], v[90:91], v[16:17]
	s_waitcnt vmcnt(2)
	v_fma_f64 v[16:17], v[20:21], v[106:107], v[16:17]
	v_fma_f64 v[16:17], v[22:23], v[96:97], v[16:17]
	v_mov_b32_e32 v96, v102
	v_mov_b32_e32 v97, v103
	s_waitcnt vmcnt(0)
	v_fma_f64 v[16:17], v[26:27], v[62:63], v[16:17]
	v_fma_f64 v[16:17], v[34:35], v[8:9], v[16:17]
	buffer_store_dword v16, off, s[36:39], 0 offset:1608 ; 4-byte Folded Spill
	buffer_store_dword v17, off, s[36:39], 0 offset:1612 ; 4-byte Folded Spill
	s_clause 0x5
	buffer_load_dword v116, off, s[36:39], 0 offset:1992
	buffer_load_dword v117, off, s[36:39], 0 offset:1996
	;; [unrolled: 1-line block ×6, first 2 shown]
	v_mov_b32_e32 v8, v52
	v_mov_b32_e32 v9, v53
	s_waitcnt vmcnt(4)
	v_fma_f64 v[16:17], v[2:3], v[116:117], 0
	v_fma_f64 v[16:17], v[0:1], v[24:25], v[16:17]
	s_waitcnt vmcnt(2)
	v_fma_f64 v[16:17], v[10:11], v[30:31], v[16:17]
	s_waitcnt vmcnt(0)
	v_fma_f64 v[16:17], v[14:15], v[98:99], v[16:17]
	v_fma_f64 v[16:17], v[20:21], v[52:53], v[16:17]
	v_mov_b32_e32 v52, v86
	v_mov_b32_e32 v53, v87
	;; [unrolled: 1-line block ×4, first 2 shown]
	v_fma_f64 v[16:17], v[22:23], v[50:51], v[16:17]
	v_fma_f64 v[16:17], v[26:27], v[64:65], v[16:17]
	;; [unrolled: 1-line block ×3, first 2 shown]
	buffer_store_dword v16, off, s[36:39], 0 offset:1616 ; 4-byte Folded Spill
	buffer_store_dword v17, off, s[36:39], 0 offset:1620 ; 4-byte Folded Spill
	v_fma_f64 v[16:17], v[2:3], v[28:29], 0
	v_fma_f64 v[16:17], v[0:1], v[40:41], v[16:17]
	;; [unrolled: 1-line block ×3, first 2 shown]
	s_clause 0x1
	buffer_load_dword v92, off, s[36:39], 0 offset:496
	buffer_load_dword v93, off, s[36:39], 0 offset:500
	v_fma_f64 v[16:17], v[14:15], v[88:89], v[16:17]
	v_fma_f64 v[16:17], v[20:21], v[36:37], v[16:17]
	v_mov_b32_e32 v36, v80
	v_mov_b32_e32 v37, v81
	v_fma_f64 v[16:17], v[22:23], v[32:33], v[16:17]
	v_fma_f64 v[16:17], v[26:27], v[38:39], v[16:17]
	s_waitcnt vmcnt(0)
	v_fma_f64 v[16:17], v[34:35], v[92:93], v[16:17]
	buffer_store_dword v16, off, s[36:39], 0 offset:1624 ; 4-byte Folded Spill
	buffer_store_dword v17, off, s[36:39], 0 offset:1628 ; 4-byte Folded Spill
	v_fma_f64 v[16:17], v[2:3], v[44:45], 0
	s_clause 0x3
	buffer_load_dword v44, off, s[36:39], 0 offset:768
	buffer_load_dword v45, off, s[36:39], 0 offset:772
	;; [unrolled: 1-line block ×4, first 2 shown]
	s_waitcnt vmcnt(2)
	v_fma_f64 v[16:17], v[0:1], v[44:45], v[16:17]
	v_fma_f64 v[16:17], v[10:11], v[66:67], v[16:17]
	v_mov_b32_e32 v67, v5
	v_mov_b32_e32 v66, v4
	v_fma_f64 v[16:17], v[14:15], v[72:73], v[16:17]
	v_mov_b32_e32 v73, v41
	v_mov_b32_e32 v72, v40
	v_fma_f64 v[16:17], v[20:21], v[52:53], v[16:17]
	v_fma_f64 v[16:17], v[22:23], v[86:87], v[16:17]
	s_waitcnt vmcnt(0)
	v_fma_f64 v[16:17], v[26:27], v[28:29], v[16:17]
	v_fma_f64 v[16:17], v[34:35], v[54:55], v[16:17]
	buffer_store_dword v16, off, s[36:39], 0 offset:1632 ; 4-byte Folded Spill
	buffer_store_dword v17, off, s[36:39], 0 offset:1636 ; 4-byte Folded Spill
	s_clause 0x1
	buffer_load_dword v18, off, s[36:39], 0 offset:608
	buffer_load_dword v19, off, s[36:39], 0 offset:612
	buffer_store_dword v120, off, s[36:39], 0 offset:1120 ; 4-byte Folded Spill
	buffer_store_dword v121, off, s[36:39], 0 offset:1124 ; 4-byte Folded Spill
	;; [unrolled: 1-line block ×4, first 2 shown]
	v_fma_f64 v[16:17], v[2:3], v[36:37], 0
	v_mov_b32_e32 v54, v108
	v_mov_b32_e32 v55, v109
	;; [unrolled: 1-line block ×4, first 2 shown]
	s_waitcnt vmcnt(0)
	v_fma_f64 v[16:17], v[0:1], v[18:19], v[16:17]
	v_fma_f64 v[16:17], v[10:11], v[78:79], v[16:17]
	;; [unrolled: 1-line block ×7, first 2 shown]
	buffer_store_dword v16, off, s[36:39], 0 offset:1944 ; 4-byte Folded Spill
	buffer_store_dword v17, off, s[36:39], 0 offset:1948 ; 4-byte Folded Spill
	s_clause 0x1
	buffer_load_dword v32, off, s[36:39], 0 offset:1104
	buffer_load_dword v33, off, s[36:39], 0 offset:1108
	v_fma_f64 v[16:17], v[2:3], v[46:47], 0
	v_fma_f64 v[16:17], v[0:1], v[126:127], v[16:17]
	s_waitcnt vmcnt(0)
	v_fma_f64 v[16:17], v[10:11], v[32:33], v[16:17]
	s_clause 0x1
	buffer_load_dword v32, off, s[36:39], 0 offset:1200
	buffer_load_dword v33, off, s[36:39], 0 offset:1204
	s_waitcnt vmcnt(0)
	v_fma_f64 v[16:17], v[14:15], v[32:33], v[16:17]
	s_clause 0x1
	buffer_load_dword v32, off, s[36:39], 0 offset:736
	buffer_load_dword v33, off, s[36:39], 0 offset:740
	s_waitcnt vmcnt(0)
	v_fma_f64 v[16:17], v[20:21], v[32:33], v[16:17]
	v_fma_f64 v[16:17], v[22:23], v[110:111], v[16:17]
	;; [unrolled: 1-line block ×4, first 2 shown]
	buffer_store_dword v16, off, s[36:39], 0 offset:1952 ; 4-byte Folded Spill
	buffer_store_dword v17, off, s[36:39], 0 offset:1956 ; 4-byte Folded Spill
	s_clause 0x7
	buffer_load_dword v124, off, s[36:39], 0 offset:1192
	buffer_load_dword v125, off, s[36:39], 0 offset:1196
	;; [unrolled: 1-line block ×8, first 2 shown]
	v_mov_b32_e32 v6, v76
	v_mov_b32_e32 v7, v77
	v_fma_f64 v[16:17], v[2:3], v[6:7], 0
	s_waitcnt vmcnt(6)
	v_fma_f64 v[16:17], v[0:1], v[124:125], v[16:17]
	s_waitcnt vmcnt(4)
	;; [unrolled: 2-line block ×3, first 2 shown]
	v_fma_f64 v[16:17], v[14:15], v[80:81], v[16:17]
	v_fma_f64 v[16:17], v[20:21], v[74:75], v[16:17]
	s_waitcnt vmcnt(0)
	v_fma_f64 v[16:17], v[22:23], v[68:69], v[16:17]
	v_fma_f64 v[16:17], v[26:27], v[58:59], v[16:17]
	;; [unrolled: 1-line block ×3, first 2 shown]
	buffer_store_dword v0, off, s[36:39], 0 offset:1368 ; 4-byte Folded Spill
	buffer_store_dword v1, off, s[36:39], 0 offset:1372 ; 4-byte Folded Spill
	s_clause 0x1b
	buffer_load_dword v0, off, s[36:39], 0 offset:1336
	buffer_load_dword v1, off, s[36:39], 0 offset:1340
	;; [unrolled: 1-line block ×28, first 2 shown]
	s_waitcnt vmcnt(24)
	v_fma_f64 v[16:17], v[0:1], v[42:43], 0
	s_waitcnt vmcnt(20)
	v_fma_f64 v[16:17], v[2:3], v[102:103], v[16:17]
	;; [unrolled: 2-line block ×8, first 2 shown]
	buffer_store_dword v16, off, s[36:39], 0 offset:1376 ; 4-byte Folded Spill
	buffer_store_dword v17, off, s[36:39], 0 offset:1380 ; 4-byte Folded Spill
	s_clause 0x1
	buffer_load_dword v90, off, s[36:39], 0 offset:1520
	buffer_load_dword v91, off, s[36:39], 0 offset:1524
	v_mov_b32_e32 v119, v61
	v_mov_b32_e32 v118, v60
	buffer_store_dword v118, off, s[36:39], 0 offset:896 ; 4-byte Folded Spill
	buffer_store_dword v119, off, s[36:39], 0 offset:900 ; 4-byte Folded Spill
	s_clause 0x1
	buffer_load_dword v4, off, s[36:39], 0 offset:928
	buffer_load_dword v5, off, s[36:39], 0 offset:932
	s_waitcnt vmcnt(2)
	v_fma_f64 v[16:17], v[0:1], v[90:91], 0
	v_fma_f64 v[16:17], v[2:3], v[60:61], v[16:17]
	s_waitcnt vmcnt(0)
	v_fma_f64 v[16:17], v[10:11], v[4:5], v[16:17]
	v_fma_f64 v[16:17], v[14:15], v[12:13], v[16:17]
	s_clause 0x1
	buffer_load_dword v12, off, s[36:39], 0 offset:560
	buffer_load_dword v13, off, s[36:39], 0 offset:564
	v_fma_f64 v[16:17], v[20:21], v[106:107], v[16:17]
	s_waitcnt vmcnt(0)
	v_fma_f64 v[16:17], v[22:23], v[12:13], v[16:17]
	v_fma_f64 v[16:17], v[26:27], v[62:63], v[16:17]
	;; [unrolled: 1-line block ×3, first 2 shown]
	buffer_store_dword v16, off, s[36:39], 0 offset:1384 ; 4-byte Folded Spill
	buffer_store_dword v17, off, s[36:39], 0 offset:1388 ; 4-byte Folded Spill
	v_fma_f64 v[16:17], v[0:1], v[116:117], 0
	v_fma_f64 v[16:17], v[2:3], v[24:25], v[16:17]
	v_mov_b32_e32 v24, v98
	v_mov_b32_e32 v25, v99
	v_fma_f64 v[16:17], v[10:11], v[30:31], v[16:17]
	v_fma_f64 v[16:17], v[14:15], v[98:99], v[16:17]
	v_mov_b32_e32 v99, v51
	v_mov_b32_e32 v98, v50
	v_fma_f64 v[16:17], v[20:21], v[8:9], v[16:17]
	v_fma_f64 v[16:17], v[22:23], v[98:99], v[16:17]
	;; [unrolled: 1-line block ×4, first 2 shown]
	buffer_store_dword v16, off, s[36:39], 0 offset:1392 ; 4-byte Folded Spill
	buffer_store_dword v17, off, s[36:39], 0 offset:1396 ; 4-byte Folded Spill
	s_clause 0x5
	buffer_load_dword v60, off, s[36:39], 0 offset:1528
	buffer_load_dword v61, off, s[36:39], 0 offset:1532
	;; [unrolled: 1-line block ×6, first 2 shown]
	v_mov_b32_e32 v97, v45
	v_mov_b32_e32 v96, v44
	s_waitcnt vmcnt(4)
	v_fma_f64 v[16:17], v[0:1], v[60:61], 0
	v_fma_f64 v[16:17], v[2:3], v[72:73], v[16:17]
	;; [unrolled: 1-line block ×4, first 2 shown]
	s_waitcnt vmcnt(2)
	v_fma_f64 v[16:17], v[20:21], v[50:51], v[16:17]
	s_waitcnt vmcnt(0)
	v_fma_f64 v[16:17], v[22:23], v[8:9], v[16:17]
	v_fma_f64 v[16:17], v[26:27], v[38:39], v[16:17]
	;; [unrolled: 1-line block ×3, first 2 shown]
	buffer_store_dword v16, off, s[36:39], 0 offset:1400 ; 4-byte Folded Spill
	buffer_store_dword v17, off, s[36:39], 0 offset:1404 ; 4-byte Folded Spill
	s_clause 0x1
	buffer_load_dword v40, off, s[36:39], 0 offset:784
	buffer_load_dword v41, off, s[36:39], 0 offset:788
	v_fma_f64 v[16:17], v[0:1], v[84:85], 0
	v_mov_b32_e32 v92, v110
	v_mov_b32_e32 v93, v111
	v_fma_f64 v[16:17], v[2:3], v[44:45], v[16:17]
	s_clause 0x1
	buffer_load_dword v44, off, s[36:39], 0 offset:272
	buffer_load_dword v45, off, s[36:39], 0 offset:276
	s_waitcnt vmcnt(2)
	v_fma_f64 v[16:17], v[10:11], v[40:41], v[16:17]
	v_fma_f64 v[16:17], v[14:15], v[112:113], v[16:17]
	;; [unrolled: 1-line block ×4, first 2 shown]
	v_mov_b32_e32 v86, v114
	v_mov_b32_e32 v87, v115
	v_fma_f64 v[16:17], v[26:27], v[28:29], v[16:17]
	s_waitcnt vmcnt(0)
	v_fma_f64 v[16:17], v[34:35], v[44:45], v[16:17]
	buffer_store_dword v16, off, s[36:39], 0 offset:1600 ; 4-byte Folded Spill
	buffer_store_dword v17, off, s[36:39], 0 offset:1604 ; 4-byte Folded Spill
	v_fma_f64 v[16:17], v[0:1], v[36:37], 0
	v_mov_b32_e32 v44, v78
	v_mov_b32_e32 v45, v79
	v_fma_f64 v[16:17], v[2:3], v[18:19], v[16:17]
	s_clause 0x1
	buffer_load_dword v18, off, s[36:39], 0 offset:256
	buffer_load_dword v19, off, s[36:39], 0 offset:260
	v_fma_f64 v[16:17], v[10:11], v[78:79], v[16:17]
	v_fma_f64 v[16:17], v[14:15], v[48:49], v[16:17]
	;; [unrolled: 1-line block ×3, first 2 shown]
	v_mov_b32_e32 v121, v77
	v_mov_b32_e32 v120, v76
	;; [unrolled: 1-line block ×4, first 2 shown]
	s_waitcnt vmcnt(0)
	v_fma_f64 v[16:17], v[22:23], v[18:19], v[16:17]
	v_fma_f64 v[16:17], v[26:27], v[104:105], v[16:17]
	v_mov_b32_e32 v105, v33
	v_mov_b32_e32 v104, v32
	v_fma_f64 v[16:17], v[34:35], v[122:123], v[16:17]
	buffer_store_dword v16, off, s[36:39], 0 offset:1928 ; 4-byte Folded Spill
	buffer_store_dword v17, off, s[36:39], 0 offset:1932 ; 4-byte Folded Spill
	s_clause 0x5
	buffer_load_dword v78, off, s[36:39], 0 offset:1104
	buffer_load_dword v79, off, s[36:39], 0 offset:1108
	;; [unrolled: 1-line block ×6, first 2 shown]
	v_fma_f64 v[16:17], v[0:1], v[46:47], 0
	v_fma_f64 v[16:17], v[2:3], v[126:127], v[16:17]
	v_mov_b32_e32 v127, v83
	v_mov_b32_e32 v126, v82
	;; [unrolled: 1-line block ×4, first 2 shown]
	s_waitcnt vmcnt(4)
	v_fma_f64 v[16:17], v[10:11], v[78:79], v[16:17]
	s_waitcnt vmcnt(2)
	v_fma_f64 v[16:17], v[14:15], v[52:53], v[16:17]
	v_fma_f64 v[16:17], v[20:21], v[104:105], v[16:17]
	;; [unrolled: 1-line block ×4, first 2 shown]
	v_mov_b32_e32 v115, v65
	v_mov_b32_e32 v114, v64
	;; [unrolled: 1-line block ×4, first 2 shown]
	s_waitcnt vmcnt(0)
	v_fma_f64 v[16:17], v[34:35], v[32:33], v[16:17]
	buffer_store_dword v16, off, s[36:39], 0 offset:1936 ; 4-byte Folded Spill
	buffer_store_dword v17, off, s[36:39], 0 offset:1940 ; 4-byte Folded Spill
	s_clause 0x1
	buffer_load_dword v110, off, s[36:39], 0 offset:1176
	buffer_load_dword v111, off, s[36:39], 0 offset:1180
	v_fma_f64 v[16:17], v[0:1], v[6:7], 0
	v_fma_f64 v[16:17], v[2:3], v[124:125], v[16:17]
	;; [unrolled: 1-line block ×7, first 2 shown]
	v_mov_b32_e32 v26, v56
	v_mov_b32_e32 v27, v57
	s_waitcnt vmcnt(0)
	v_fma_f64 v[0:1], v[34:35], v[110:111], v[16:17]
	buffer_store_dword v0, off, s[36:39], 0 offset:1336 ; 4-byte Folded Spill
	buffer_store_dword v1, off, s[36:39], 0 offset:1340 ; 4-byte Folded Spill
	s_clause 0xd
	buffer_load_dword v0, off, s[36:39], 0 offset:1312
	buffer_load_dword v1, off, s[36:39], 0 offset:1316
	;; [unrolled: 1-line block ×14, first 2 shown]
	s_waitcnt vmcnt(12)
	v_fma_f64 v[16:17], v[0:1], v[42:43], 0
	s_clause 0x3
	buffer_load_dword v42, off, s[36:39], 0 offset:1808
	buffer_load_dword v43, off, s[36:39], 0 offset:1812
	;; [unrolled: 1-line block ×4, first 2 shown]
	s_waitcnt vmcnt(14)
	v_fma_f64 v[16:17], v[2:3], v[102:103], v[16:17]
	s_waitcnt vmcnt(12)
	v_fma_f64 v[16:17], v[10:11], v[126:127], v[16:17]
	;; [unrolled: 2-line block ×7, first 2 shown]
	v_fma_f64 v[16:17], v[0:1], v[64:65], 0
	buffer_store_dword v6, off, s[36:39], 0 offset:1344 ; 4-byte Folded Spill
	buffer_store_dword v7, off, s[36:39], 0 offset:1348 ; 4-byte Folded Spill
	v_fma_f64 v[16:17], v[2:3], v[118:119], v[16:17]
	v_mov_b32_e32 v119, v87
	v_mov_b32_e32 v118, v86
	v_fma_f64 v[16:17], v[10:11], v[4:5], v[16:17]
	s_clause 0x1
	buffer_load_dword v4, off, s[36:39], 0 offset:512
	buffer_load_dword v5, off, s[36:39], 0 offset:516
	s_waitcnt vmcnt(0)
	v_fma_f64 v[16:17], v[14:15], v[4:5], v[16:17]
	v_fma_f64 v[16:17], v[20:21], v[106:107], v[16:17]
	;; [unrolled: 1-line block ×5, first 2 shown]
	buffer_store_dword v6, off, s[36:39], 0 offset:1352 ; 4-byte Folded Spill
	buffer_store_dword v7, off, s[36:39], 0 offset:1356 ; 4-byte Folded Spill
	s_clause 0x3
	buffer_load_dword v90, off, s[36:39], 0 offset:912
	buffer_load_dword v91, off, s[36:39], 0 offset:916
	;; [unrolled: 1-line block ×4, first 2 shown]
	v_fma_f64 v[16:17], v[0:1], v[116:117], 0
	v_fma_f64 v[16:17], v[2:3], v[108:109], v[16:17]
	v_fma_f64 v[16:17], v[10:11], v[30:31], v[16:17]
	v_fma_f64 v[16:17], v[14:15], v[24:25], v[16:17]
	s_waitcnt vmcnt(2)
	v_fma_f64 v[16:17], v[20:21], v[90:91], v[16:17]
	v_fma_f64 v[16:17], v[22:23], v[98:99], v[16:17]
	;; [unrolled: 1-line block ×3, first 2 shown]
	s_waitcnt vmcnt(0)
	v_fma_f64 v[6:7], v[42:43], v[12:13], v[16:17]
	buffer_store_dword v6, off, s[36:39], 0 offset:1360 ; 4-byte Folded Spill
	buffer_store_dword v7, off, s[36:39], 0 offset:1364 ; 4-byte Folded Spill
	s_clause 0x1
	buffer_load_dword v24, off, s[36:39], 0 offset:496
	buffer_load_dword v25, off, s[36:39], 0 offset:500
	v_fma_f64 v[16:17], v[0:1], v[60:61], 0
	v_fma_f64 v[16:17], v[2:3], v[72:73], v[16:17]
	;; [unrolled: 1-line block ×7, first 2 shown]
	s_waitcnt vmcnt(0)
	v_fma_f64 v[16:17], v[42:43], v[24:25], v[16:17]
	buffer_store_dword v16, off, s[36:39], 0 offset:1576 ; 4-byte Folded Spill
	buffer_store_dword v17, off, s[36:39], 0 offset:1580 ; 4-byte Folded Spill
	s_clause 0x5
	buffer_load_dword v108, off, s[36:39], 0 offset:800
	buffer_load_dword v109, off, s[36:39], 0 offset:804
	;; [unrolled: 1-line block ×6, first 2 shown]
	v_fma_f64 v[16:17], v[0:1], v[84:85], 0
	v_fma_f64 v[16:17], v[2:3], v[96:97], v[16:17]
	;; [unrolled: 1-line block ×4, first 2 shown]
	v_mov_b32_e32 v113, v37
	v_mov_b32_e32 v112, v36
	s_waitcnt vmcnt(4)
	v_fma_f64 v[16:17], v[20:21], v[108:109], v[16:17]
	s_waitcnt vmcnt(2)
	v_fma_f64 v[16:17], v[22:23], v[30:31], v[16:17]
	v_fma_f64 v[16:17], v[34:35], v[28:29], v[16:17]
	s_waitcnt vmcnt(0)
	v_fma_f64 v[16:17], v[42:43], v[54:55], v[16:17]
	buffer_store_dword v16, off, s[36:39], 0 offset:1856 ; 4-byte Folded Spill
	buffer_store_dword v17, off, s[36:39], 0 offset:1860 ; 4-byte Folded Spill
	s_clause 0x3
	buffer_load_dword v38, off, s[36:39], 0 offset:608
	buffer_load_dword v39, off, s[36:39], 0 offset:612
	;; [unrolled: 1-line block ×4, first 2 shown]
	v_fma_f64 v[16:17], v[0:1], v[36:37], 0
	s_clause 0x1
	buffer_load_dword v36, off, s[36:39], 0 offset:1136
	buffer_load_dword v37, off, s[36:39], 0 offset:1140
	s_waitcnt vmcnt(4)
	v_fma_f64 v[16:17], v[2:3], v[38:39], v[16:17]
	v_fma_f64 v[16:17], v[10:11], v[44:45], v[16:17]
	;; [unrolled: 1-line block ×3, first 2 shown]
	s_waitcnt vmcnt(2)
	v_fma_f64 v[16:17], v[20:21], v[62:63], v[16:17]
	v_fma_f64 v[16:17], v[22:23], v[18:19], v[16:17]
	v_mov_b32_e32 v18, v52
	v_mov_b32_e32 v19, v53
	s_waitcnt vmcnt(0)
	v_fma_f64 v[16:17], v[34:35], v[36:37], v[16:17]
	v_fma_f64 v[16:17], v[42:43], v[122:123], v[16:17]
	buffer_store_dword v16, off, s[36:39], 0 offset:1896 ; 4-byte Folded Spill
	buffer_store_dword v17, off, s[36:39], 0 offset:1900 ; 4-byte Folded Spill
	s_clause 0x1
	buffer_load_dword v6, off, s[36:39], 0 offset:1512
	buffer_load_dword v7, off, s[36:39], 0 offset:1516
	v_fma_f64 v[16:17], v[0:1], v[46:47], 0
	s_waitcnt vmcnt(0)
	v_fma_f64 v[16:17], v[2:3], v[6:7], v[16:17]
	v_fma_f64 v[16:17], v[10:11], v[78:79], v[16:17]
	;; [unrolled: 1-line block ×7, first 2 shown]
	buffer_store_dword v16, off, s[36:39], 0 offset:1904 ; 4-byte Folded Spill
	buffer_store_dword v17, off, s[36:39], 0 offset:1908 ; 4-byte Folded Spill
	s_clause 0x1
	buffer_load_dword v52, off, s[36:39], 0 offset:1208
	buffer_load_dword v53, off, s[36:39], 0 offset:1212
	s_waitcnt vmcnt(0)
	v_fma_f64 v[16:17], v[0:1], v[52:53], 0
	v_fma_f64 v[16:17], v[2:3], v[124:125], v[16:17]
	;; [unrolled: 1-line block ×3, first 2 shown]
	v_mov_b32_e32 v10, v58
	v_mov_b32_e32 v11, v59
	v_fma_f64 v[16:17], v[14:15], v[80:81], v[16:17]
	v_fma_f64 v[16:17], v[20:21], v[74:75], v[16:17]
	;; [unrolled: 1-line block ×5, first 2 shown]
	buffer_store_dword v0, off, s[36:39], 0 offset:1312 ; 4-byte Folded Spill
	buffer_store_dword v1, off, s[36:39], 0 offset:1316 ; 4-byte Folded Spill
	s_clause 0x9
	buffer_load_dword v72, off, s[36:39], 0 offset:1304
	buffer_load_dword v73, off, s[36:39], 0 offset:1308
	;; [unrolled: 1-line block ×10, first 2 shown]
	s_waitcnt vmcnt(6)
	v_fma_f64 v[16:17], v[72:73], v[0:1], 0
	s_clause 0x7
	buffer_load_dword v58, off, s[36:39], 0 offset:1784
	buffer_load_dword v59, off, s[36:39], 0 offset:1788
	;; [unrolled: 1-line block ×8, first 2 shown]
	s_waitcnt vmcnt(12)
	v_fma_f64 v[16:17], v[70:71], v[102:103], v[16:17]
	s_waitcnt vmcnt(10)
	v_fma_f64 v[16:17], v[66:67], v[126:127], v[16:17]
	;; [unrolled: 2-line block ×4, first 2 shown]
	s_clause 0x3
	buffer_load_dword v0, off, s[36:39], 0 offset:1760
	buffer_load_dword v1, off, s[36:39], 0 offset:1764
	;; [unrolled: 1-line block ×4, first 2 shown]
	s_waitcnt vmcnt(6)
	v_fma_f64 v[16:17], v[14:15], v[26:27], v[16:17]
	s_waitcnt vmcnt(4)
	v_fma_f64 v[16:17], v[2:3], v[114:115], v[16:17]
	;; [unrolled: 2-line block ×3, first 2 shown]
	v_fma_f64 v[16:17], v[72:73], v[64:65], 0
	s_waitcnt vmcnt(0)
	v_fma_f64 v[16:17], v[70:71], v[22:23], v[16:17]
	s_clause 0x1
	buffer_load_dword v22, off, s[36:39], 0 offset:928
	buffer_load_dword v23, off, s[36:39], 0 offset:932
	s_waitcnt vmcnt(0)
	v_fma_f64 v[16:17], v[66:67], v[22:23], v[16:17]
	v_fma_f64 v[16:17], v[60:61], v[4:5], v[16:17]
	s_clause 0x1
	buffer_load_dword v4, off, s[36:39], 0 offset:560
	buffer_load_dword v5, off, s[36:39], 0 offset:564
	v_fma_f64 v[16:17], v[58:59], v[106:107], v[16:17]
	s_waitcnt vmcnt(0)
	v_fma_f64 v[16:17], v[14:15], v[4:5], v[16:17]
	s_clause 0x1
	buffer_load_dword v4, off, s[36:39], 0 offset:576
	buffer_load_dword v5, off, s[36:39], 0 offset:580
	s_waitcnt vmcnt(0)
	v_fma_f64 v[16:17], v[2:3], v[4:5], v[16:17]
	s_clause 0x1
	buffer_load_dword v4, off, s[36:39], 0 offset:432
	buffer_load_dword v5, off, s[36:39], 0 offset:436
	v_fma_f64 v[56:57], v[0:1], v[76:77], v[16:17]
	v_fma_f64 v[16:17], v[72:73], v[116:117], 0
	s_waitcnt vmcnt(0)
	v_fma_f64 v[16:17], v[70:71], v[4:5], v[16:17]
	s_clause 0x1
	buffer_load_dword v4, off, s[36:39], 0 offset:448
	buffer_load_dword v5, off, s[36:39], 0 offset:452
	s_waitcnt vmcnt(0)
	v_fma_f64 v[16:17], v[66:67], v[4:5], v[16:17]
	s_clause 0x1
	buffer_load_dword v4, off, s[36:39], 0 offset:464
	buffer_load_dword v5, off, s[36:39], 0 offset:468
	;; [unrolled: 5-line block ×3, first 2 shown]
	v_fma_f64 v[16:17], v[58:59], v[90:91], v[16:17]
	v_fma_f64 v[16:17], v[14:15], v[98:99], v[16:17]
	s_waitcnt vmcnt(0)
	v_fma_f64 v[16:17], v[2:3], v[4:5], v[16:17]
	s_clause 0x1
	buffer_load_dword v4, off, s[36:39], 0 offset:1528
	buffer_load_dword v5, off, s[36:39], 0 offset:1532
	v_fma_f64 v[26:27], v[0:1], v[12:13], v[16:17]
	s_waitcnt vmcnt(0)
	v_fma_f64 v[16:17], v[72:73], v[4:5], 0
	s_clause 0x1
	buffer_load_dword v4, off, s[36:39], 0 offset:480
	buffer_load_dword v5, off, s[36:39], 0 offset:484
	v_fma_f64 v[16:17], v[70:71], v[82:83], v[16:17]
	v_fma_f64 v[16:17], v[66:67], v[94:95], v[16:17]
	;; [unrolled: 1-line block ×5, first 2 shown]
	s_waitcnt vmcnt(0)
	v_fma_f64 v[16:17], v[2:3], v[4:5], v[16:17]
	s_clause 0x1
	buffer_load_dword v4, off, s[36:39], 0 offset:416
	buffer_load_dword v5, off, s[36:39], 0 offset:420
	v_fma_f64 v[24:25], v[0:1], v[24:25], v[16:17]
	v_fma_f64 v[16:17], v[72:73], v[84:85], 0
	;; [unrolled: 1-line block ×4, first 2 shown]
	s_waitcnt vmcnt(0)
	v_fma_f64 v[16:17], v[60:61], v[4:5], v[16:17]
	s_clause 0x1
	buffer_load_dword v4, off, s[36:39], 0 offset:256
	buffer_load_dword v5, off, s[36:39], 0 offset:260
	v_fma_f64 v[16:17], v[58:59], v[108:109], v[16:17]
	v_fma_f64 v[16:17], v[14:15], v[30:31], v[16:17]
	;; [unrolled: 1-line block ×9, first 2 shown]
	s_waitcnt vmcnt(0)
	v_fma_f64 v[16:17], v[14:15], v[4:5], v[16:17]
	v_fma_f64 v[16:17], v[2:3], v[36:37], v[16:17]
	;; [unrolled: 1-line block ×19, first 2 shown]
	s_clause 0x5
	buffer_load_dword v0, off, s[36:39], 0 offset:2048
	buffer_load_dword v1, off, s[36:39], 0 offset:2052
	;; [unrolled: 1-line block ×6, first 2 shown]
	s_waitcnt vmcnt(0)
	v_add_f64 v[4:5], v[0:1], v[4:5]
	s_clause 0x1
	buffer_load_dword v0, off, s[36:39], 0 offset:1696
	buffer_load_dword v1, off, s[36:39], 0 offset:1700
	s_waitcnt vmcnt(0)
	v_add_f64 v[6:7], v[2:3], v[0:1]
	buffer_store_dword v4, off, s[36:39], 0 offset:256 ; 4-byte Folded Spill
	buffer_store_dword v5, off, s[36:39], 0 offset:260 ; 4-byte Folded Spill
	;; [unrolled: 1-line block ×4, first 2 shown]
	s_clause 0x5
	buffer_load_dword v0, off, s[36:39], 0 offset:2032
	buffer_load_dword v1, off, s[36:39], 0 offset:2036
	buffer_load_dword v2, off, s[36:39], 0 offset:2040
	buffer_load_dword v3, off, s[36:39], 0 offset:2044
	buffer_load_dword v4, off, s[36:39], 0 offset:1664
	buffer_load_dword v5, off, s[36:39], 0 offset:1668
	s_waitcnt vmcnt(0)
	v_add_f64 v[4:5], v[0:1], v[4:5]
	s_clause 0x1
	buffer_load_dword v0, off, s[36:39], 0 offset:1432
	buffer_load_dword v1, off, s[36:39], 0 offset:1436
	s_waitcnt vmcnt(0)
	v_add_f64 v[6:7], v[2:3], v[0:1]
	buffer_store_dword v4, off, s[36:39], 0 offset:432 ; 4-byte Folded Spill
	buffer_store_dword v5, off, s[36:39], 0 offset:436 ; 4-byte Folded Spill
	;; [unrolled: 1-line block ×4, first 2 shown]
	s_clause 0x5
	buffer_load_dword v0, off, s[36:39], 0 offset:2016
	buffer_load_dword v1, off, s[36:39], 0 offset:2020
	;; [unrolled: 1-line block ×6, first 2 shown]
	s_waitcnt vmcnt(0)
	v_add_f64 v[104:105], v[0:1], v[4:5]
	s_clause 0x1
	buffer_load_dword v0, off, s[36:39], 0 offset:1376
	buffer_load_dword v1, off, s[36:39], 0 offset:1380
	s_waitcnt vmcnt(0)
	v_add_f64 v[106:107], v[2:3], v[0:1]
	s_clause 0x5
	buffer_load_dword v0, off, s[36:39], 0 offset:2000
	buffer_load_dword v1, off, s[36:39], 0 offset:2004
	;; [unrolled: 1-line block ×6, first 2 shown]
	s_waitcnt vmcnt(2)
	v_add_f64 v[2:3], v[2:3], v[42:43]
	s_waitcnt vmcnt(0)
	v_add_f64 v[0:1], v[0:1], v[4:5]
	buffer_store_dword v0, off, s[36:39], 0 offset:800 ; 4-byte Folded Spill
	buffer_store_dword v1, off, s[36:39], 0 offset:804 ; 4-byte Folded Spill
	buffer_store_dword v2, off, s[36:39], 0 offset:808 ; 4-byte Folded Spill
	buffer_store_dword v3, off, s[36:39], 0 offset:812 ; 4-byte Folded Spill
	s_clause 0x5
	buffer_load_dword v0, off, s[36:39], 0 offset:2112
	buffer_load_dword v1, off, s[36:39], 0 offset:2116
	buffer_load_dword v2, off, s[36:39], 0 offset:2120
	buffer_load_dword v3, off, s[36:39], 0 offset:2124
	buffer_load_dword v4, off, s[36:39], 0 offset:1720
	buffer_load_dword v5, off, s[36:39], 0 offset:1724
	s_waitcnt vmcnt(0)
	v_add_f64 v[4:5], v[0:1], v[4:5]
	s_clause 0x1
	buffer_load_dword v0, off, s[36:39], 0 offset:1864
	buffer_load_dword v1, off, s[36:39], 0 offset:1868
	s_waitcnt vmcnt(0)
	v_add_f64 v[6:7], v[2:3], v[0:1]
	buffer_store_dword v4, off, s[36:39], 0 offset:448 ; 4-byte Folded Spill
	buffer_store_dword v5, off, s[36:39], 0 offset:452 ; 4-byte Folded Spill
	buffer_store_dword v6, off, s[36:39], 0 offset:456 ; 4-byte Folded Spill
	buffer_store_dword v7, off, s[36:39], 0 offset:460 ; 4-byte Folded Spill
	s_clause 0x5
	buffer_load_dword v0, off, s[36:39], 0 offset:2096
	buffer_load_dword v1, off, s[36:39], 0 offset:2100
	buffer_load_dword v2, off, s[36:39], 0 offset:2104
	buffer_load_dword v3, off, s[36:39], 0 offset:2108
	buffer_load_dword v4, off, s[36:39], 0 offset:1672
	buffer_load_dword v5, off, s[36:39], 0 offset:1676
	s_waitcnt vmcnt(0)
	v_add_f64 v[4:5], v[0:1], v[4:5]
	s_clause 0x1
	buffer_load_dword v0, off, s[36:39], 0 offset:1440
	buffer_load_dword v1, off, s[36:39], 0 offset:1444
	;; [unrolled: 18-line block ×3, first 2 shown]
	s_waitcnt vmcnt(0)
	v_add_f64 v[102:103], v[2:3], v[0:1]
	s_clause 0x5
	buffer_load_dword v0, off, s[36:39], 0 offset:2064
	buffer_load_dword v1, off, s[36:39], 0 offset:2068
	;; [unrolled: 1-line block ×6, first 2 shown]
	s_waitcnt vmcnt(2)
	v_add_f64 v[2:3], v[2:3], v[56:57]
	s_waitcnt vmcnt(0)
	v_add_f64 v[0:1], v[0:1], v[4:5]
	buffer_store_dword v0, off, s[36:39], 0 offset:784 ; 4-byte Folded Spill
	buffer_store_dword v1, off, s[36:39], 0 offset:788 ; 4-byte Folded Spill
	;; [unrolled: 1-line block ×4, first 2 shown]
	s_clause 0x5
	buffer_load_dword v0, off, s[36:39], 0 offset:2176
	buffer_load_dword v1, off, s[36:39], 0 offset:2180
	;; [unrolled: 1-line block ×6, first 2 shown]
	s_waitcnt vmcnt(0)
	v_add_f64 v[108:109], v[0:1], v[4:5]
	s_clause 0x1
	buffer_load_dword v0, off, s[36:39], 0 offset:1872
	buffer_load_dword v1, off, s[36:39], 0 offset:1876
	s_waitcnt vmcnt(0)
	v_add_f64 v[110:111], v[2:3], v[0:1]
	s_clause 0x5
	buffer_load_dword v0, off, s[36:39], 0 offset:2160
	buffer_load_dword v1, off, s[36:39], 0 offset:2164
	;; [unrolled: 1-line block ×6, first 2 shown]
	s_waitcnt vmcnt(0)
	v_add_f64 v[0:1], v[0:1], v[4:5]
	s_clause 0x1
	buffer_load_dword v4, off, s[36:39], 0 offset:1640
	buffer_load_dword v5, off, s[36:39], 0 offset:1644
	s_waitcnt vmcnt(0)
	v_add_f64 v[2:3], v[2:3], v[4:5]
	buffer_store_dword v0, off, s[36:39], 0 offset:864 ; 4-byte Folded Spill
	buffer_store_dword v1, off, s[36:39], 0 offset:868 ; 4-byte Folded Spill
	;; [unrolled: 1-line block ×4, first 2 shown]
	s_clause 0x5
	buffer_load_dword v0, off, s[36:39], 0 offset:2144
	buffer_load_dword v1, off, s[36:39], 0 offset:2148
	;; [unrolled: 1-line block ×6, first 2 shown]
	s_waitcnt vmcnt(0)
	v_add_f64 v[0:1], v[0:1], v[4:5]
	s_clause 0x1
	buffer_load_dword v4, off, s[36:39], 0 offset:1392
	buffer_load_dword v5, off, s[36:39], 0 offset:1396
	s_waitcnt vmcnt(0)
	v_add_f64 v[2:3], v[2:3], v[4:5]
	buffer_store_dword v0, off, s[36:39], 0 offset:480 ; 4-byte Folded Spill
	buffer_store_dword v1, off, s[36:39], 0 offset:484 ; 4-byte Folded Spill
	buffer_store_dword v2, off, s[36:39], 0 offset:488 ; 4-byte Folded Spill
	buffer_store_dword v3, off, s[36:39], 0 offset:492 ; 4-byte Folded Spill
	s_clause 0x5
	buffer_load_dword v0, off, s[36:39], 0 offset:2128
	buffer_load_dword v1, off, s[36:39], 0 offset:2132
	;; [unrolled: 1-line block ×6, first 2 shown]
	s_waitcnt vmcnt(2)
	v_add_f64 v[2:3], v[2:3], v[26:27]
	s_waitcnt vmcnt(0)
	v_add_f64 v[0:1], v[0:1], v[4:5]
	buffer_store_dword v0, off, s[36:39], 0 offset:400 ; 4-byte Folded Spill
	buffer_store_dword v1, off, s[36:39], 0 offset:404 ; 4-byte Folded Spill
	;; [unrolled: 1-line block ×4, first 2 shown]
	s_clause 0x5
	buffer_load_dword v0, off, s[36:39], 0 offset:2240
	buffer_load_dword v1, off, s[36:39], 0 offset:2244
	;; [unrolled: 1-line block ×6, first 2 shown]
	s_waitcnt vmcnt(0)
	v_add_f64 v[64:65], v[0:1], v[4:5]
	s_clause 0x1
	buffer_load_dword v0, off, s[36:39], 0 offset:1472
	buffer_load_dword v1, off, s[36:39], 0 offset:1476
	s_waitcnt vmcnt(0)
	v_add_f64 v[66:67], v[2:3], v[0:1]
	s_clause 0x5
	buffer_load_dword v0, off, s[36:39], 0 offset:2224
	buffer_load_dword v1, off, s[36:39], 0 offset:2228
	buffer_load_dword v2, off, s[36:39], 0 offset:2232
	buffer_load_dword v3, off, s[36:39], 0 offset:2236
	buffer_load_dword v4, off, s[36:39], 0 offset:1464
	buffer_load_dword v5, off, s[36:39], 0 offset:1468
	s_waitcnt vmcnt(0)
	v_add_f64 v[0:1], v[0:1], v[4:5]
	s_clause 0x1
	buffer_load_dword v4, off, s[36:39], 0 offset:1648
	buffer_load_dword v5, off, s[36:39], 0 offset:1652
	s_waitcnt vmcnt(0)
	v_add_f64 v[2:3], v[2:3], v[4:5]
	buffer_store_dword v0, off, s[36:39], 0 offset:464 ; 4-byte Folded Spill
	buffer_store_dword v1, off, s[36:39], 0 offset:468 ; 4-byte Folded Spill
	buffer_store_dword v2, off, s[36:39], 0 offset:472 ; 4-byte Folded Spill
	buffer_store_dword v3, off, s[36:39], 0 offset:476 ; 4-byte Folded Spill
	s_clause 0x5
	buffer_load_dword v0, off, s[36:39], 0 offset:2208
	buffer_load_dword v1, off, s[36:39], 0 offset:2212
	;; [unrolled: 1-line block ×6, first 2 shown]
	s_waitcnt vmcnt(0)
	v_add_f64 v[76:77], v[0:1], v[4:5]
	s_clause 0x1
	buffer_load_dword v0, off, s[36:39], 0 offset:1400
	buffer_load_dword v1, off, s[36:39], 0 offset:1404
	s_waitcnt vmcnt(0)
	v_add_f64 v[78:79], v[2:3], v[0:1]
	s_clause 0x5
	buffer_load_dword v0, off, s[36:39], 0 offset:2192
	buffer_load_dword v1, off, s[36:39], 0 offset:2196
	;; [unrolled: 1-line block ×6, first 2 shown]
	s_waitcnt vmcnt(2)
	v_add_f64 v[86:87], v[2:3], v[24:25]
	s_waitcnt vmcnt(0)
	v_add_f64 v[84:85], v[0:1], v[4:5]
	s_clause 0x7
	buffer_load_dword v0, off, s[36:39], 0 offset:2304
	buffer_load_dword v1, off, s[36:39], 0 offset:2308
	;; [unrolled: 1-line block ×8, first 2 shown]
	s_waitcnt vmcnt(2)
	v_add_f64 v[0:1], v[0:1], v[4:5]
	s_waitcnt vmcnt(0)
	v_add_f64 v[2:3], v[2:3], v[6:7]
	buffer_store_dword v0, off, s[36:39], 0 offset:848 ; 4-byte Folded Spill
	buffer_store_dword v1, off, s[36:39], 0 offset:852 ; 4-byte Folded Spill
	buffer_store_dword v2, off, s[36:39], 0 offset:856 ; 4-byte Folded Spill
	buffer_store_dword v3, off, s[36:39], 0 offset:860 ; 4-byte Folded Spill
	s_clause 0x5
	buffer_load_dword v0, off, s[36:39], 0 offset:2288
	buffer_load_dword v1, off, s[36:39], 0 offset:2292
	;; [unrolled: 1-line block ×6, first 2 shown]
	s_waitcnt vmcnt(0)
	v_add_f64 v[0:1], v[0:1], v[4:5]
	s_clause 0x1
	buffer_load_dword v4, off, s[36:39], 0 offset:1656
	buffer_load_dword v5, off, s[36:39], 0 offset:1660
	s_waitcnt vmcnt(0)
	v_add_f64 v[2:3], v[2:3], v[4:5]
	buffer_store_dword v0, off, s[36:39], 0 offset:752 ; 4-byte Folded Spill
	buffer_store_dword v1, off, s[36:39], 0 offset:756 ; 4-byte Folded Spill
	;; [unrolled: 1-line block ×4, first 2 shown]
	s_clause 0x5
	buffer_load_dword v0, off, s[36:39], 0 offset:2272
	buffer_load_dword v1, off, s[36:39], 0 offset:2276
	;; [unrolled: 1-line block ×6, first 2 shown]
	s_waitcnt vmcnt(0)
	v_add_f64 v[0:1], v[0:1], v[4:5]
	s_clause 0x1
	buffer_load_dword v4, off, s[36:39], 0 offset:1600
	buffer_load_dword v5, off, s[36:39], 0 offset:1604
	s_waitcnt vmcnt(0)
	v_add_f64 v[2:3], v[2:3], v[4:5]
	buffer_store_dword v0, off, s[36:39], 0 offset:608 ; 4-byte Folded Spill
	buffer_store_dword v1, off, s[36:39], 0 offset:612 ; 4-byte Folded Spill
	;; [unrolled: 1-line block ×4, first 2 shown]
	s_clause 0x5
	buffer_load_dword v0, off, s[36:39], 0 offset:2256
	buffer_load_dword v1, off, s[36:39], 0 offset:2260
	;; [unrolled: 1-line block ×6, first 2 shown]
	s_waitcnt vmcnt(2)
	v_add_f64 v[2:3], v[2:3], v[22:23]
	s_waitcnt vmcnt(0)
	v_add_f64 v[0:1], v[0:1], v[4:5]
	buffer_store_dword v0, off, s[36:39], 0 offset:832 ; 4-byte Folded Spill
	buffer_store_dword v1, off, s[36:39], 0 offset:836 ; 4-byte Folded Spill
	buffer_store_dword v2, off, s[36:39], 0 offset:840 ; 4-byte Folded Spill
	buffer_store_dword v3, off, s[36:39], 0 offset:844 ; 4-byte Folded Spill
	s_clause 0x5
	buffer_load_dword v0, off, s[36:39], 0 offset:2368
	buffer_load_dword v1, off, s[36:39], 0 offset:2372
	buffer_load_dword v2, off, s[36:39], 0 offset:2376
	buffer_load_dword v3, off, s[36:39], 0 offset:2380
	buffer_load_dword v4, off, s[36:39], 0 offset:1840
	buffer_load_dword v5, off, s[36:39], 0 offset:1844
	s_waitcnt vmcnt(0)
	v_add_f64 v[0:1], v[0:1], v[4:5]
	s_clause 0x1
	buffer_load_dword v4, off, s[36:39], 0 offset:1488
	buffer_load_dword v5, off, s[36:39], 0 offset:1492
	s_waitcnt vmcnt(0)
	v_add_f64 v[2:3], v[2:3], v[4:5]
	buffer_store_dword v0, off, s[36:39], 0 offset:768 ; 4-byte Folded Spill
	buffer_store_dword v1, off, s[36:39], 0 offset:772 ; 4-byte Folded Spill
	buffer_store_dword v2, off, s[36:39], 0 offset:776 ; 4-byte Folded Spill
	buffer_store_dword v3, off, s[36:39], 0 offset:780 ; 4-byte Folded Spill
	s_clause 0x5
	buffer_load_dword v0, off, s[36:39], 0 offset:2352
	buffer_load_dword v1, off, s[36:39], 0 offset:2356
	buffer_load_dword v2, off, s[36:39], 0 offset:2360
	buffer_load_dword v3, off, s[36:39], 0 offset:2364
	buffer_load_dword v4, off, s[36:39], 0 offset:1880
	buffer_load_dword v5, off, s[36:39], 0 offset:1884
	s_waitcnt vmcnt(0)
	v_add_f64 v[0:1], v[0:1], v[4:5]
	s_clause 0x1
	buffer_load_dword v4, off, s[36:39], 0 offset:1912
	buffer_load_dword v5, off, s[36:39], 0 offset:1916
	;; [unrolled: 18-line block ×3, first 2 shown]
	s_waitcnt vmcnt(0)
	v_add_f64 v[2:3], v[2:3], v[4:5]
	buffer_store_dword v0, off, s[36:39], 0 offset:592 ; 4-byte Folded Spill
	buffer_store_dword v1, off, s[36:39], 0 offset:596 ; 4-byte Folded Spill
	;; [unrolled: 1-line block ×4, first 2 shown]
	s_clause 0x5
	buffer_load_dword v0, off, s[36:39], 0 offset:2320
	buffer_load_dword v1, off, s[36:39], 0 offset:2324
	;; [unrolled: 1-line block ×6, first 2 shown]
	s_waitcnt vmcnt(2)
	v_add_f64 v[74:75], v[2:3], v[34:35]
	s_waitcnt vmcnt(0)
	v_add_f64 v[72:73], v[0:1], v[4:5]
	s_clause 0x5
	buffer_load_dword v0, off, s[36:39], 0 offset:2432
	buffer_load_dword v1, off, s[36:39], 0 offset:2436
	buffer_load_dword v2, off, s[36:39], 0 offset:2440
	buffer_load_dword v3, off, s[36:39], 0 offset:2444
	buffer_load_dword v4, off, s[36:39], 0 offset:1848
	buffer_load_dword v5, off, s[36:39], 0 offset:1852
	s_waitcnt vmcnt(0)
	v_add_f64 v[68:69], v[0:1], v[4:5]
	s_clause 0x1
	buffer_load_dword v0, off, s[36:39], 0 offset:1688
	buffer_load_dword v1, off, s[36:39], 0 offset:1692
	s_waitcnt vmcnt(0)
	v_add_f64 v[70:71], v[2:3], v[0:1]
	s_clause 0x5
	buffer_load_dword v0, off, s[36:39], 0 offset:2416
	buffer_load_dword v1, off, s[36:39], 0 offset:2420
	buffer_load_dword v2, off, s[36:39], 0 offset:2424
	buffer_load_dword v3, off, s[36:39], 0 offset:2428
	buffer_load_dword v4, off, s[36:39], 0 offset:1888
	buffer_load_dword v5, off, s[36:39], 0 offset:1892
	s_waitcnt vmcnt(0)
	v_add_f64 v[80:81], v[0:1], v[4:5]
	s_clause 0x1
	buffer_load_dword v0, off, s[36:39], 0 offset:1920
	buffer_load_dword v1, off, s[36:39], 0 offset:1924
	;; [unrolled: 14-line block ×3, first 2 shown]
	s_waitcnt vmcnt(0)
	v_add_f64 v[58:59], v[2:3], v[0:1]
	s_clause 0x5
	buffer_load_dword v0, off, s[36:39], 0 offset:2384
	buffer_load_dword v1, off, s[36:39], 0 offset:2388
	;; [unrolled: 1-line block ×6, first 2 shown]
	s_waitcnt vmcnt(2)
	v_add_f64 v[54:55], v[2:3], v[16:17]
	s_waitcnt vmcnt(0)
	v_add_f64 v[52:53], v[0:1], v[4:5]
	s_clause 0x5
	buffer_load_dword v0, off, s[36:39], 0 offset:2496
	buffer_load_dword v1, off, s[36:39], 0 offset:2500
	buffer_load_dword v2, off, s[36:39], 0 offset:2504
	buffer_load_dword v3, off, s[36:39], 0 offset:2508
	buffer_load_dword v4, off, s[36:39], 0 offset:1704
	buffer_load_dword v5, off, s[36:39], 0 offset:1708
	s_waitcnt vmcnt(0)
	v_add_f64 v[60:61], v[0:1], v[4:5]
	s_clause 0x1
	buffer_load_dword v0, off, s[36:39], 0 offset:1448
	buffer_load_dword v1, off, s[36:39], 0 offset:1452
	s_waitcnt vmcnt(0)
	v_add_f64 v[62:63], v[2:3], v[0:1]
	s_clause 0x5
	buffer_load_dword v0, off, s[36:39], 0 offset:2480
	buffer_load_dword v1, off, s[36:39], 0 offset:2484
	buffer_load_dword v2, off, s[36:39], 0 offset:2488
	buffer_load_dword v3, off, s[36:39], 0 offset:2492
	buffer_load_dword v4, off, s[36:39], 0 offset:1424
	buffer_load_dword v5, off, s[36:39], 0 offset:1428
	s_waitcnt vmcnt(0)
	v_add_f64 v[30:31], v[0:1], v[4:5]
	s_clause 0x1
	buffer_load_dword v0, off, s[36:39], 0 offset:1408
	buffer_load_dword v1, off, s[36:39], 0 offset:1412
	;; [unrolled: 14-line block ×4, first 2 shown]
	buffer_load_dword v24, off, s[36:39], 0 offset:1744
	buffer_load_dword v25, off, s[36:39], 0 offset:1748
	;; [unrolled: 1-line block ×4, first 2 shown]
	s_waitcnt vmcnt(6)
	v_add_f64 v[92:93], v[0:1], v[4:5]
	s_waitcnt vmcnt(5)
	v_add_co_u32 v2, vcc_lo, v2, 8
	s_waitcnt vmcnt(4)
	v_add_co_ci_u32_e64 v3, null, 0, v3, vcc_lo
	s_waitcnt vmcnt(3)
	v_add_co_u32 v24, vcc_lo, v24, 8
	s_waitcnt vmcnt(2)
	v_add_co_ci_u32_e64 v25, null, 0, v25, vcc_lo
	;; [unrolled: 4-line block ×3, first 2 shown]
	s_cbranch_scc1 .LBB0_36
; %bb.35:                               ;   in Loop: Header=BB0_21 Depth=1
	s_clause 0x13
	buffer_load_dword v96, off, s[36:39], 0 offset:624
	buffer_load_dword v97, off, s[36:39], 0 offset:628
	;; [unrolled: 1-line block ×20, first 2 shown]
	s_branch .LBB0_21
.LBB0_36:
	buffer_store_dword v68, off, s[36:39], 0 offset:560 ; 4-byte Folded Spill
	buffer_store_dword v69, off, s[36:39], 0 offset:564 ; 4-byte Folded Spill
	;; [unrolled: 1-line block ×20, first 2 shown]
	s_clause 0x19
	buffer_load_dword v96, off, s[36:39], 0 offset:624
	buffer_load_dword v97, off, s[36:39], 0 offset:628
	;; [unrolled: 1-line block ×26, first 2 shown]
.LBB0_37:
	buffer_store_dword v80, off, s[36:39], 0 offset:272 ; 4-byte Folded Spill
	buffer_store_dword v81, off, s[36:39], 0 offset:276 ; 4-byte Folded Spill
	;; [unrolled: 1-line block ×8, first 2 shown]
; %bb.38:
	s_clause 0x1
	buffer_load_dword v0, off, s[36:39], 0 offset:2512
	buffer_load_dword v1, off, s[36:39], 0 offset:2516
	s_waitcnt vmcnt(3)
	v_add_co_u32 v16, vcc_lo, s10, v3
	s_waitcnt vmcnt(2)
	v_add_co_ci_u32_e64 v17, null, s11, v4, vcc_lo
	v_mov_b32_e32 v68, v76
	v_mov_b32_e32 v8, v72
	;; [unrolled: 1-line block ×8, first 2 shown]
	s_cmp_lt_i32 s7, 1
	s_waitcnt vmcnt(0)
	global_store_dwordx2 v[16:17], v[0:1], off
	s_clause 0x1
	buffer_load_dword v0, off, s[36:39], 0 offset:2520
	buffer_load_dword v1, off, s[36:39], 0 offset:2524
	s_cbranch_scc1 .LBB0_51
; %bb.39:
	s_waitcnt vmcnt(1)
	v_mul_lo_u32 v16, v0, s7
	s_clause 0x1
	s_load_dword s2, s[4:5], 0x78
	s_load_dwordx2 s[0:1], s[4:5], 0x80
	s_cmp_lg_u32 s7, 0
	v_ashrrev_i32_e32 v17, 31, v16
	v_lshlrev_b64 v[16:17], 3, v[16:17]
	v_add_co_u32 v0, vcc_lo, s8, v16
	s_waitcnt vmcnt(0)
	v_add_co_ci_u32_e64 v1, null, s9, v17, vcc_lo
	s_cselect_b32 vcc_lo, -1, 0
	s_waitcnt lgkmcnt(0)
	v_add_co_u32 v32, s0, s0, v16
	s_bitcmp1_b32 s2, 0
	v_add_co_ci_u32_e64 v33, null, s1, v17, s0
	v_cndmask_b32_e32 v3, 0, v1, vcc_lo
	v_cndmask_b32_e32 v2, 0, v0, vcc_lo
	s_cselect_b32 s0, -1, 0
	s_cmp_lg_u32 s6, 0
	s_cselect_b32 s1, -1, 0
	s_lshl_b32 s2, s6, 1
	s_branch .LBB0_42
.LBB0_40:                               ;   in Loop: Header=BB0_42 Depth=1
	v_mov_b32_e32 v13, v11
	v_mov_b32_e32 v12, v10
	;; [unrolled: 1-line block ×4, first 2 shown]
.LBB0_41:                               ;   in Loop: Header=BB0_42 Depth=1
	s_waitcnt vmcnt(7)
	buffer_store_dword v14, off, s[36:39], 0 offset:272 ; 4-byte Folded Spill
	s_waitcnt vmcnt(6)
	buffer_store_dword v15, off, s[36:39], 0 offset:276 ; 4-byte Folded Spill
	;; [unrolled: 2-line block ×4, first 2 shown]
	buffer_store_dword v72, off, s[36:39], 0 offset:400 ; 4-byte Folded Spill
	buffer_store_dword v73, off, s[36:39], 0 offset:404 ; 4-byte Folded Spill
	;; [unrolled: 1-line block ×4, first 2 shown]
	s_clause 0x7
	buffer_load_dword v0, off, s[36:39], 0 offset:640
	buffer_load_dword v1, off, s[36:39], 0 offset:644
	;; [unrolled: 1-line block ×8, first 2 shown]
	v_mov_b32_e32 v8, v10
	v_mov_b32_e32 v9, v11
	;; [unrolled: 1-line block ×4, first 2 shown]
	s_waitcnt vmcnt(8)
	v_mov_b32_e32 v68, v76
	v_mov_b32_e32 v69, v77
	;; [unrolled: 1-line block ×4, first 2 shown]
	s_mov_b32 m0, s2
	v_add_co_u32 v32, vcc_lo, v32, 8
	v_add_co_ci_u32_e64 v33, null, 0, v33, vcc_lo
	s_add_i32 s7, s7, -1
	s_cmp_lg_u32 s7, 0
	s_waitcnt vmcnt(6)
	v_fma_f64 v[0:1], v[0:1], v[112:113], 0
	s_waitcnt vmcnt(4)
	v_fma_f64 v[2:3], v[112:113], v[2:3], 0
	s_waitcnt vmcnt(0)
	v_mov_b32_e32 v99, v7
	v_mov_b32_e32 v98, v6
	;; [unrolled: 1-line block ×4, first 2 shown]
	v_fma_f64 v[0:1], v[4:5], v[114:115], v[0:1]
	v_fma_f64 v[2:3], v[114:115], v[6:7], v[2:3]
	s_clause 0x3
	buffer_load_dword v4, off, s[36:39], 0 offset:656
	buffer_load_dword v5, off, s[36:39], 0 offset:660
	buffer_load_dword v6, off, s[36:39], 0 offset:664
	buffer_load_dword v7, off, s[36:39], 0 offset:668
	s_waitcnt vmcnt(2)
	v_fma_f64 v[0:1], v[4:5], v[116:117], v[0:1]
	s_waitcnt vmcnt(0)
	v_fma_f64 v[2:3], v[116:117], v[6:7], v[2:3]
	s_clause 0x3
	buffer_load_dword v4, off, s[36:39], 0 offset:64
	buffer_load_dword v5, off, s[36:39], 0 offset:68
	buffer_load_dword v6, off, s[36:39], 0 offset:72
	buffer_load_dword v7, off, s[36:39], 0 offset:76
	s_waitcnt vmcnt(2)
	v_fma_f64 v[0:1], v[4:5], v[118:119], v[0:1]
	s_waitcnt vmcnt(0)
	;; [unrolled: 9-line block ×6, first 2 shown]
	v_fma_f64 v[18:19], v[126:127], v[6:7], v[2:3]
	s_clause 0x1f
	buffer_load_dword v0, off, s[36:39], 0 offset:176
	buffer_load_dword v1, off, s[36:39], 0 offset:180
	;; [unrolled: 1-line block ×12, first 2 shown]
	buffer_load_dword v20, off, s[36:39], 0
	buffer_load_dword v21, off, s[36:39], 0 offset:4
	buffer_load_dword v22, off, s[36:39], 0 offset:8
	;; [unrolled: 1-line block ×19, first 2 shown]
	s_waitcnt vmcnt(30)
	v_fma_f64 v[0:1], v[112:113], v[0:1], 0
	s_waitcnt vmcnt(26)
	v_fma_f64 v[0:1], v[114:115], v[4:5], v[0:1]
	s_waitcnt vmcnt(22)
	v_fma_f64 v[0:1], v[116:117], v[12:13], v[0:1]
	s_waitcnt vmcnt(18)
	v_fma_f64 v[0:1], v[118:119], v[20:21], v[0:1]
	s_waitcnt vmcnt(14)
	v_fma_f64 v[0:1], v[120:121], v[24:25], v[0:1]
	s_waitcnt vmcnt(10)
	v_fma_f64 v[0:1], v[122:123], v[28:29], v[0:1]
	s_waitcnt vmcnt(6)
	v_fma_f64 v[0:1], v[124:125], v[56:57], v[0:1]
	s_waitcnt vmcnt(2)
	v_fma_f64 v[20:21], v[126:127], v[60:61], v[0:1]
	v_fma_f64 v[0:1], v[112:113], v[2:3], 0
	v_fma_f64 v[0:1], v[114:115], v[6:7], v[0:1]
	;; [unrolled: 1-line block ×7, first 2 shown]
	s_waitcnt vmcnt(0)
	v_fma_f64 v[22:23], v[126:127], v[62:63], v[0:1]
	s_clause 0x1f
	buffer_load_dword v0, off, s[36:39], 0 offset:304
	buffer_load_dword v1, off, s[36:39], 0 offset:308
	;; [unrolled: 1-line block ×32, first 2 shown]
	s_waitcnt vmcnt(30)
	v_fma_f64 v[0:1], v[112:113], v[0:1], 0
	s_waitcnt vmcnt(26)
	v_fma_f64 v[0:1], v[114:115], v[4:5], v[0:1]
	;; [unrolled: 2-line block ×8, first 2 shown]
	v_fma_f64 v[0:1], v[112:113], v[2:3], 0
	v_fma_f64 v[0:1], v[114:115], v[6:7], v[0:1]
	;; [unrolled: 1-line block ×7, first 2 shown]
	s_waitcnt vmcnt(0)
	v_fma_f64 v[26:27], v[126:127], v[74:75], v[0:1]
	s_clause 0x1f
	buffer_load_dword v0, off, s[36:39], 0 offset:288
	buffer_load_dword v1, off, s[36:39], 0 offset:292
	;; [unrolled: 1-line block ×32, first 2 shown]
	s_waitcnt vmcnt(30)
	v_fma_f64 v[0:1], v[112:113], v[0:1], 0
	s_waitcnt vmcnt(26)
	v_fma_f64 v[0:1], v[114:115], v[4:5], v[0:1]
	;; [unrolled: 2-line block ×8, first 2 shown]
	v_fma_f64 v[0:1], v[112:113], v[2:3], 0
	s_clause 0x1
	buffer_load_dword v2, off, s[36:39], 0 offset:1728
	buffer_load_dword v3, off, s[36:39], 0 offset:1732
	v_fma_f64 v[0:1], v[114:115], v[6:7], v[0:1]
	v_fma_f64 v[0:1], v[116:117], v[14:15], v[0:1]
	v_fma_f64 v[0:1], v[118:119], v[30:31], v[0:1]
	v_fma_f64 v[0:1], v[120:121], v[58:59], v[0:1]
	v_fma_f64 v[0:1], v[122:123], v[74:75], v[0:1]
	v_fma_f64 v[0:1], v[124:125], v[78:79], v[0:1]
	s_waitcnt vmcnt(2)
	v_fma_f64 v[30:31], v[126:127], v[90:91], v[0:1]
	v_movrels_b32_e32 v1, v17
	v_movrels_b32_e32 v0, v16
	s_waitcnt vmcnt(0)
	v_add_f64 v[0:1], v[2:3], v[0:1]
	s_clause 0x1
	buffer_load_dword v2, off, s[36:39], 0 offset:928
	buffer_load_dword v3, off, s[36:39], 0 offset:932
	v_movreld_b32_e32 v16, v0
	v_movreld_b32_e32 v17, v1
	v_mov_b32_e32 v127, v31
	v_mov_b32_e32 v126, v30
	;; [unrolled: 1-line block ×16, first 2 shown]
	s_waitcnt vmcnt(1)
	v_add_co_u32 v2, vcc_lo, v2, 8
	s_waitcnt vmcnt(0)
	v_add_co_ci_u32_e64 v3, null, 0, v3, vcc_lo
	s_cbranch_scc0 .LBB0_51
.LBB0_42:                               ; =>This Inner Loop Header: Depth=1
	s_andn2_b32 vcc_lo, exec_lo, s1
	s_cbranch_vccnz .LBB0_44
; %bb.43:                               ;   in Loop: Header=BB0_42 Depth=1
	s_clause 0x1
	buffer_load_dword v0, off, s[36:39], 0 offset:1232
	buffer_load_dword v1, off, s[36:39], 0 offset:1236
	s_mov_b32 s3, 0
	s_waitcnt vmcnt(0)
	v_fma_f64 v[16:17], v[112:113], v[0:1], 0
	s_clause 0x1
	buffer_load_dword v0, off, s[36:39], 0 offset:1224
	buffer_load_dword v1, off, s[36:39], 0 offset:1228
	s_waitcnt vmcnt(0)
	v_fma_f64 v[16:17], v[114:115], v[0:1], v[16:17]
	s_clause 0x1
	buffer_load_dword v0, off, s[36:39], 0 offset:1248
	buffer_load_dword v1, off, s[36:39], 0 offset:1252
	;; [unrolled: 5-line block ×7, first 2 shown]
	s_waitcnt vmcnt(0)
	v_fma_f64 v[16:17], v[126:127], v[0:1], v[16:17]
	global_store_dwordx2 v[2:3], v[16:17], off
	s_branch .LBB0_45
.LBB0_44:                               ;   in Loop: Header=BB0_42 Depth=1
	s_mov_b32 s3, -1
.LBB0_45:                               ;   in Loop: Header=BB0_42 Depth=1
	v_mov_b32_e32 v79, v71
	s_clause 0x3
	buffer_load_dword v72, off, s[36:39], 0 offset:400
	buffer_load_dword v73, off, s[36:39], 0 offset:404
	;; [unrolled: 1-line block ×4, first 2 shown]
	v_mov_b32_e32 v78, v70
	v_mov_b32_e32 v77, v69
	;; [unrolled: 1-line block ×3, first 2 shown]
	s_clause 0x7
	buffer_load_dword v14, off, s[36:39], 0 offset:272
	buffer_load_dword v15, off, s[36:39], 0 offset:276
	;; [unrolled: 1-line block ×8, first 2 shown]
	s_andn2_b32 vcc_lo, exec_lo, s3
	s_cbranch_vccnz .LBB0_47
; %bb.46:                               ;   in Loop: Header=BB0_42 Depth=1
	global_store_dwordx2 v[2:3], v[112:113], off
.LBB0_47:                               ;   in Loop: Header=BB0_42 Depth=1
	s_andn2_b32 vcc_lo, exec_lo, s0
	buffer_store_dword v2, off, s[36:39], 0 offset:928 ; 4-byte Folded Spill
	buffer_store_dword v3, off, s[36:39], 0 offset:932 ; 4-byte Folded Spill
	s_cbranch_vccnz .LBB0_40
; %bb.48:                               ;   in Loop: Header=BB0_42 Depth=1
	buffer_store_dword v32, off, s[36:39], 0 offset:400 ; 4-byte Folded Spill
	buffer_store_dword v33, off, s[36:39], 0 offset:404 ; 4-byte Folded Spill
	;; [unrolled: 1-line block ×18, first 2 shown]
	s_clause 0x1b
	buffer_load_dword v0, off, s[36:39], 0 offset:256
	buffer_load_dword v1, off, s[36:39], 0 offset:260
	;; [unrolled: 1-line block ×28, first 2 shown]
	buffer_store_dword v84, off, s[36:39], 0 offset:816 ; 4-byte Folded Spill
	buffer_store_dword v85, off, s[36:39], 0 offset:820 ; 4-byte Folded Spill
	;; [unrolled: 1-line block ×4, first 2 shown]
	s_clause 0x3
	buffer_load_dword v84, off, s[36:39], 0 offset:848
	buffer_load_dword v85, off, s[36:39], 0 offset:852
	;; [unrolled: 1-line block ×4, first 2 shown]
	buffer_store_dword v64, off, s[36:39], 0 offset:880 ; 4-byte Folded Spill
	buffer_store_dword v65, off, s[36:39], 0 offset:884 ; 4-byte Folded Spill
	buffer_store_dword v66, off, s[36:39], 0 offset:888 ; 4-byte Folded Spill
	buffer_store_dword v67, off, s[36:39], 0 offset:892 ; 4-byte Folded Spill
	v_mov_b32_e32 v123, v95
	v_mov_b32_e32 v122, v94
	;; [unrolled: 1-line block ×4, first 2 shown]
	s_clause 0x7
	buffer_load_dword v64, off, s[36:39], 0 offset:864
	buffer_load_dword v65, off, s[36:39], 0 offset:868
	;; [unrolled: 1-line block ×8, first 2 shown]
	s_waitcnt vmcnt(44)
	v_mov_b32_e32 v47, v17
	v_mov_b32_e32 v63, v11
	v_mov_b32_e32 v46, v16
	v_mov_b32_e32 v45, v15
	v_mov_b32_e32 v44, v14
	v_mov_b32_e32 v62, v10
	v_mov_b32_e32 v61, v9
	v_mov_b32_e32 v60, v8
	s_andn2_b32 vcc_lo, exec_lo, s1
	s_cbranch_vccnz .LBB0_50
; %bb.49:                               ;   in Loop: Header=BB0_42 Depth=1
	s_clause 0x1b
	buffer_load_dword v2, off, s[36:39], 0 offset:1232
	buffer_load_dword v3, off, s[36:39], 0 offset:1236
	;; [unrolled: 1-line block ×28, first 2 shown]
	s_waitcnt vmcnt(24)
	v_mul_f64 v[16:17], v[22:23], v[2:3]
	s_clause 0x3
	buffer_load_dword v22, off, s[36:39], 0 offset:1280
	buffer_load_dword v23, off, s[36:39], 0 offset:1284
	;; [unrolled: 1-line block ×4, first 2 shown]
	s_waitcnt vmcnt(24)
	v_mul_f64 v[18:19], v[26:27], v[2:3]
	v_fma_f64 v[16:17], v[16:17], v[2:3], 0
	s_waitcnt vmcnt(20)
	v_fma_f64 v[16:17], v[18:19], v[0:1], v[16:17]
	v_mul_f64 v[18:19], v[108:109], v[2:3]
	s_waitcnt vmcnt(18)
	v_fma_f64 v[16:17], v[18:19], v[6:7], v[16:17]
	s_waitcnt vmcnt(16)
	v_mul_f64 v[18:19], v[52:53], v[2:3]
	s_waitcnt vmcnt(12)
	v_fma_f64 v[16:17], v[18:19], v[4:5], v[16:17]
	v_mul_f64 v[18:19], v[84:85], v[2:3]
	s_waitcnt vmcnt(10)
	v_fma_f64 v[16:17], v[18:19], v[14:15], v[16:17]
	s_waitcnt vmcnt(8)
	v_mul_f64 v[18:19], v[112:113], v[2:3]
	s_waitcnt vmcnt(4)
	v_fma_f64 v[16:17], v[18:19], v[12:13], v[16:17]
	v_mul_f64 v[18:19], v[56:57], v[2:3]
	s_waitcnt vmcnt(2)
	v_fma_f64 v[16:17], v[18:19], v[22:23], v[16:17]
	;; [unrolled: 3-line block ×3, first 2 shown]
	v_mul_f64 v[18:19], v[24:25], v[0:1]
	s_clause 0x3
	buffer_load_dword v24, off, s[36:39], 0 offset:432
	buffer_load_dword v25, off, s[36:39], 0 offset:436
	;; [unrolled: 1-line block ×4, first 2 shown]
	v_fma_f64 v[16:17], v[18:19], v[2:3], v[16:17]
	v_mul_f64 v[18:19], v[28:29], v[0:1]
	s_clause 0x3
	buffer_load_dword v28, off, s[36:39], 0 offset:416
	buffer_load_dword v29, off, s[36:39], 0 offset:420
	;; [unrolled: 1-line block ×4, first 2 shown]
	v_fma_f64 v[16:17], v[18:19], v[0:1], v[16:17]
	v_mul_f64 v[18:19], v[110:111], v[0:1]
	v_fma_f64 v[16:17], v[18:19], v[6:7], v[16:17]
	v_mul_f64 v[18:19], v[54:55], v[0:1]
	s_clause 0xb
	buffer_load_dword v52, off, s[36:39], 0 offset:464
	buffer_load_dword v53, off, s[36:39], 0 offset:468
	buffer_load_dword v54, off, s[36:39], 0 offset:472
	buffer_load_dword v55, off, s[36:39], 0 offset:476
	buffer_load_dword v8, off, s[36:39], 0 offset:752
	buffer_load_dword v9, off, s[36:39], 0 offset:756
	buffer_load_dword v10, off, s[36:39], 0 offset:760
	buffer_load_dword v11, off, s[36:39], 0 offset:764
	buffer_load_dword v80, off, s[36:39], 0 offset:736
	buffer_load_dword v81, off, s[36:39], 0 offset:740
	buffer_load_dword v82, off, s[36:39], 0 offset:744
	buffer_load_dword v83, off, s[36:39], 0 offset:748
	v_fma_f64 v[16:17], v[18:19], v[4:5], v[16:17]
	v_mul_f64 v[18:19], v[86:87], v[0:1]
	v_fma_f64 v[16:17], v[18:19], v[14:15], v[16:17]
	v_mul_f64 v[18:19], v[114:115], v[0:1]
	;; [unrolled: 2-line block ×4, first 2 shown]
	v_fma_f64 v[16:17], v[18:19], v[20:21], v[16:17]
	s_waitcnt vmcnt(18)
	v_mul_f64 v[18:19], v[24:25], v[6:7]
	v_fma_f64 v[16:17], v[18:19], v[2:3], v[16:17]
	s_waitcnt vmcnt(14)
	v_mul_f64 v[18:19], v[28:29], v[6:7]
	v_fma_f64 v[16:17], v[18:19], v[0:1], v[16:17]
	v_mul_f64 v[18:19], v[64:65], v[6:7]
	v_fma_f64 v[16:17], v[18:19], v[6:7], v[16:17]
	s_waitcnt vmcnt(10)
	v_mul_f64 v[18:19], v[52:53], v[6:7]
	v_fma_f64 v[16:17], v[18:19], v[4:5], v[16:17]
	s_waitcnt vmcnt(6)
	;; [unrolled: 3-line block ×3, first 2 shown]
	v_mul_f64 v[18:19], v[80:81], v[6:7]
	v_fma_f64 v[16:17], v[18:19], v[12:13], v[16:17]
	v_mul_f64 v[18:19], v[44:45], v[6:7]
	v_fma_f64 v[16:17], v[18:19], v[22:23], v[16:17]
	;; [unrolled: 2-line block ×3, first 2 shown]
	v_mul_f64 v[18:19], v[26:27], v[4:5]
	s_clause 0x3
	buffer_load_dword v26, off, s[36:39], 0 offset:608
	buffer_load_dword v27, off, s[36:39], 0 offset:612
	;; [unrolled: 1-line block ×4, first 2 shown]
	v_fma_f64 v[16:17], v[18:19], v[2:3], v[16:17]
	v_mul_f64 v[18:19], v[30:31], v[4:5]
	v_fma_f64 v[16:17], v[18:19], v[0:1], v[16:17]
	v_mul_f64 v[18:19], v[66:67], v[4:5]
	;; [unrolled: 2-line block ×4, first 2 shown]
	v_fma_f64 v[16:17], v[18:19], v[14:15], v[16:17]
	s_waitcnt vmcnt(4)
	v_mul_f64 v[18:19], v[82:83], v[4:5]
	v_fma_f64 v[16:17], v[18:19], v[12:13], v[16:17]
	v_mul_f64 v[18:19], v[46:47], v[4:5]
	v_fma_f64 v[16:17], v[18:19], v[22:23], v[16:17]
	v_mul_f64 v[18:19], v[42:43], v[4:5]
	v_fma_f64 v[16:17], v[18:19], v[20:21], v[16:17]
	v_mul_f64 v[18:19], v[104:105], v[14:15]
	v_fma_f64 v[16:17], v[18:19], v[2:3], v[16:17]
	v_mul_f64 v[18:19], v[100:101], v[14:15]
	v_fma_f64 v[16:17], v[18:19], v[0:1], v[16:17]
	v_mul_f64 v[18:19], v[68:69], v[14:15]
	v_fma_f64 v[16:17], v[18:19], v[6:7], v[16:17]
	v_mul_f64 v[18:19], v[76:77], v[14:15]
	v_fma_f64 v[16:17], v[18:19], v[4:5], v[16:17]
	s_waitcnt vmcnt(2)
	v_mul_f64 v[18:19], v[26:27], v[14:15]
	s_clause 0x3
	buffer_load_dword v24, off, s[36:39], 0 offset:592
	buffer_load_dword v25, off, s[36:39], 0 offset:596
	;; [unrolled: 1-line block ×4, first 2 shown]
	v_fma_f64 v[16:17], v[18:19], v[14:15], v[16:17]
	s_waitcnt vmcnt(2)
	v_mul_f64 v[18:19], v[24:25], v[14:15]
	v_fma_f64 v[16:17], v[18:19], v[12:13], v[16:17]
	v_mul_f64 v[18:19], v[36:37], v[14:15]
	v_fma_f64 v[16:17], v[18:19], v[22:23], v[16:17]
	;; [unrolled: 2-line block ×7, first 2 shown]
	v_mul_f64 v[18:19], v[28:29], v[12:13]
	s_clause 0x3
	buffer_load_dword v28, off, s[36:39], 0 offset:800
	buffer_load_dword v29, off, s[36:39], 0 offset:804
	buffer_load_dword v30, off, s[36:39], 0 offset:808
	buffer_load_dword v31, off, s[36:39], 0 offset:812
	v_fma_f64 v[16:17], v[18:19], v[14:15], v[16:17]
	s_waitcnt vmcnt(4)
	v_mul_f64 v[18:19], v[26:27], v[12:13]
	v_fma_f64 v[16:17], v[18:19], v[12:13], v[16:17]
	v_mul_f64 v[18:19], v[38:39], v[12:13]
	v_fma_f64 v[16:17], v[18:19], v[22:23], v[16:17]
	;; [unrolled: 2-line block ×3, first 2 shown]
	s_waitcnt vmcnt(2)
	v_mul_f64 v[18:19], v[28:29], v[22:23]
	s_clause 0x3
	buffer_load_dword v26, off, s[36:39], 0 offset:784
	buffer_load_dword v27, off, s[36:39], 0 offset:788
	;; [unrolled: 1-line block ×4, first 2 shown]
	v_fma_f64 v[16:17], v[18:19], v[2:3], v[16:17]
	s_waitcnt vmcnt(2)
	v_mul_f64 v[18:19], v[26:27], v[22:23]
	s_clause 0x3
	buffer_load_dword v24, off, s[36:39], 0 offset:816
	buffer_load_dword v25, off, s[36:39], 0 offset:820
	;; [unrolled: 1-line block ×4, first 2 shown]
	v_fma_f64 v[16:17], v[18:19], v[0:1], v[16:17]
	v_mul_f64 v[18:19], v[72:73], v[22:23]
	v_fma_f64 v[16:17], v[18:19], v[6:7], v[16:17]
	s_waitcnt vmcnt(2)
	v_mul_f64 v[18:19], v[24:25], v[22:23]
	v_fma_f64 v[16:17], v[18:19], v[4:5], v[16:17]
	v_mul_f64 v[18:19], v[88:89], v[22:23]
	v_fma_f64 v[16:17], v[18:19], v[14:15], v[16:17]
	;; [unrolled: 2-line block ×8, first 2 shown]
	s_waitcnt vmcnt(0)
	v_mul_f64 v[18:19], v[26:27], v[20:21]
	v_fma_f64 v[16:17], v[18:19], v[4:5], v[16:17]
	v_mul_f64 v[18:19], v[90:91], v[20:21]
	v_fma_f64 v[16:17], v[18:19], v[14:15], v[16:17]
	;; [unrolled: 2-line block ×5, first 2 shown]
.LBB0_50:                               ;   in Loop: Header=BB0_42 Depth=1
	s_waitcnt vmcnt(39)
	buffer_store_dword v0, off, s[36:39], 0 offset:944 ; 4-byte Folded Spill
	s_waitcnt vmcnt(38)
	buffer_store_dword v1, off, s[36:39], 0 offset:948 ; 4-byte Folded Spill
	s_clause 0x7
	buffer_load_dword v52, off, s[36:39], 0 offset:640
	buffer_load_dword v53, off, s[36:39], 0 offset:644
	;; [unrolled: 1-line block ×8, first 2 shown]
	v_mov_b32_e32 v127, v99
	v_mov_b32_e32 v125, v97
	;; [unrolled: 1-line block ×4, first 2 shown]
	s_waitcnt vmcnt(2)
	v_fma_f64 v[16:17], v[52:53], v[0:1], 0
	v_fma_f64 v[18:19], v[54:55], v[0:1], 0
	s_waitcnt vmcnt(0)
	v_fma_f64 v[4:5], v[124:125], v[2:3], v[16:17]
	buffer_store_dword v4, off, s[36:39], 0 offset:960 ; 4-byte Folded Spill
	buffer_store_dword v5, off, s[36:39], 0 offset:964 ; 4-byte Folded Spill
	v_fma_f64 v[4:5], v[126:127], v[2:3], v[18:19]
	buffer_store_dword v4, off, s[36:39], 0 offset:976 ; 4-byte Folded Spill
	buffer_store_dword v5, off, s[36:39], 0 offset:980 ; 4-byte Folded Spill
	s_clause 0x7
	buffer_load_dword v112, off, s[36:39], 0 offset:176
	buffer_load_dword v113, off, s[36:39], 0 offset:180
	;; [unrolled: 1-line block ×8, first 2 shown]
	s_waitcnt vmcnt(6)
	v_fma_f64 v[20:21], v[112:113], v[0:1], 0
	s_waitcnt vmcnt(4)
	v_fma_f64 v[22:23], v[114:115], v[0:1], 0
	;; [unrolled: 2-line block ×3, first 2 shown]
	buffer_store_dword v4, off, s[36:39], 0 offset:984 ; 4-byte Folded Spill
	buffer_store_dword v5, off, s[36:39], 0 offset:988 ; 4-byte Folded Spill
	s_clause 0x7
	buffer_load_dword v4, off, s[36:39], 0 offset:304
	buffer_load_dword v5, off, s[36:39], 0 offset:308
	;; [unrolled: 1-line block ×8, first 2 shown]
	buffer_store_dword v60, off, s[36:39], 0 offset:912 ; 4-byte Folded Spill
	buffer_store_dword v61, off, s[36:39], 0 offset:916 ; 4-byte Folded Spill
	;; [unrolled: 1-line block ×4, first 2 shown]
	s_clause 0x7
	buffer_load_dword v18, off, s[36:39], 0 offset:288
	buffer_load_dword v19, off, s[36:39], 0 offset:292
	;; [unrolled: 1-line block ×8, first 2 shown]
	s_waitcnt vmcnt(16)
	v_fma_f64 v[22:23], v[118:119], v[2:3], v[22:23]
	s_waitcnt vmcnt(14)
	v_fma_f64 v[24:25], v[4:5], v[0:1], 0
	;; [unrolled: 2-line block ×5, first 2 shown]
	v_fma_f64 v[24:25], v[14:15], v[2:3], v[24:25]
	v_fma_f64 v[26:27], v[16:17], v[2:3], v[26:27]
	s_waitcnt vmcnt(2)
	v_fma_f64 v[28:29], v[80:81], v[2:3], v[28:29]
	s_waitcnt vmcnt(0)
	v_fma_f64 v[30:31], v[82:83], v[2:3], v[30:31]
	s_clause 0x3
	buffer_load_dword v0, off, s[36:39], 0 offset:448
	buffer_load_dword v1, off, s[36:39], 0 offset:452
	;; [unrolled: 1-line block ×4, first 2 shown]
	buffer_store_dword v32, off, s[36:39], 0 offset:496 ; 4-byte Folded Spill
	buffer_store_dword v33, off, s[36:39], 0 offset:500 ; 4-byte Folded Spill
	buffer_store_dword v34, off, s[36:39], 0 offset:504 ; 4-byte Folded Spill
	buffer_store_dword v35, off, s[36:39], 0 offset:508 ; 4-byte Folded Spill
	s_waitcnt vmcnt(2)
	v_fma_f64 v[34:35], v[54:55], v[0:1], 0
	v_fma_f64 v[32:33], v[52:53], v[0:1], 0
	s_waitcnt vmcnt(0)
	v_fma_f64 v[10:11], v[126:127], v[2:3], v[34:35]
	v_fma_f64 v[8:9], v[124:125], v[2:3], v[32:33]
	buffer_store_dword v10, off, s[36:39], 0 offset:256 ; 4-byte Folded Spill
	buffer_store_dword v11, off, s[36:39], 0 offset:260 ; 4-byte Folded Spill
	buffer_store_dword v36, off, s[36:39], 0 offset:512 ; 4-byte Folded Spill
	buffer_store_dword v37, off, s[36:39], 0 offset:516 ; 4-byte Folded Spill
	buffer_store_dword v38, off, s[36:39], 0 offset:520 ; 4-byte Folded Spill
	buffer_store_dword v39, off, s[36:39], 0 offset:524 ; 4-byte Folded Spill
	buffer_store_dword v92, off, s[36:39], 0 offset:576 ; 4-byte Folded Spill
	buffer_store_dword v93, off, s[36:39], 0 offset:580 ; 4-byte Folded Spill
	buffer_store_dword v94, off, s[36:39], 0 offset:584 ; 4-byte Folded Spill
	buffer_store_dword v95, off, s[36:39], 0 offset:588 ; 4-byte Folded Spill
	buffer_store_dword v40, off, s[36:39], 0 offset:528 ; 4-byte Folded Spill
	buffer_store_dword v41, off, s[36:39], 0 offset:532 ; 4-byte Folded Spill
	buffer_store_dword v42, off, s[36:39], 0 offset:536 ; 4-byte Folded Spill
	buffer_store_dword v43, off, s[36:39], 0 offset:540 ; 4-byte Folded Spill
	buffer_store_dword v44, off, s[36:39], 0 offset:272 ; 4-byte Folded Spill
	buffer_store_dword v45, off, s[36:39], 0 offset:276 ; 4-byte Folded Spill
	buffer_store_dword v46, off, s[36:39], 0 offset:280 ; 4-byte Folded Spill
	buffer_store_dword v47, off, s[36:39], 0 offset:284 ; 4-byte Folded Spill
	buffer_store_dword v120, off, s[36:39], 0 offset:896 ; 4-byte Folded Spill
	buffer_store_dword v121, off, s[36:39], 0 offset:900 ; 4-byte Folded Spill
	buffer_store_dword v122, off, s[36:39], 0 offset:904 ; 4-byte Folded Spill
	buffer_store_dword v123, off, s[36:39], 0 offset:908 ; 4-byte Folded Spill
	buffer_store_dword v56, off, s[36:39], 0 offset:560 ; 4-byte Folded Spill
	buffer_store_dword v57, off, s[36:39], 0 offset:564 ; 4-byte Folded Spill
	buffer_store_dword v58, off, s[36:39], 0 offset:568 ; 4-byte Folded Spill
	buffer_store_dword v59, off, s[36:39], 0 offset:572 ; 4-byte Folded Spill
	buffer_store_dword v48, off, s[36:39], 0 offset:544 ; 4-byte Folded Spill
	buffer_store_dword v49, off, s[36:39], 0 offset:548 ; 4-byte Folded Spill
	buffer_store_dword v50, off, s[36:39], 0 offset:552 ; 4-byte Folded Spill
	buffer_store_dword v51, off, s[36:39], 0 offset:556 ; 4-byte Folded Spill
	v_fma_f64 v[48:49], v[52:53], v[108:109], 0
	v_fma_f64 v[36:37], v[112:113], v[0:1], 0
	;; [unrolled: 1-line block ×10, first 2 shown]
	v_mov_b32_e32 v95, v91
	v_mov_b32_e32 v94, v90
	;; [unrolled: 1-line block ×4, first 2 shown]
	v_fma_f64 v[0:1], v[124:125], v[110:111], v[48:49]
	v_fma_f64 v[124:125], v[4:5], v[108:109], 0
	;; [unrolled: 1-line block ×8, first 2 shown]
	buffer_store_dword v0, off, s[36:39], 0 offset:448 ; 4-byte Folded Spill
	buffer_store_dword v1, off, s[36:39], 0 offset:452 ; 4-byte Folded Spill
	v_fma_f64 v[0:1], v[126:127], v[110:111], v[50:51]
	v_fma_f64 v[126:127], v[6:7], v[108:109], 0
	v_mov_b32_e32 v4, v80
	v_mov_b32_e32 v6, v82
	;; [unrolled: 1-line block ×4, first 2 shown]
	buffer_store_dword v0, off, s[36:39], 0 offset:992 ; 4-byte Folded Spill
	buffer_store_dword v1, off, s[36:39], 0 offset:996 ; 4-byte Folded Spill
	v_fma_f64 v[0:1], v[116:117], v[110:111], v[120:121]
	s_clause 0x7
	buffer_load_dword v48, off, s[36:39], 0 offset:752
	buffer_load_dword v49, off, s[36:39], 0 offset:756
	;; [unrolled: 1-line block ×8, first 2 shown]
	v_fma_f64 v[116:117], v[20:21], v[108:109], 0
	buffer_store_dword v0, off, s[36:39], 0 offset:1000 ; 4-byte Folded Spill
	buffer_store_dword v1, off, s[36:39], 0 offset:1004 ; 4-byte Folded Spill
	v_fma_f64 v[0:1], v[118:119], v[110:111], v[122:123]
	buffer_store_dword v0, off, s[36:39], 0 offset:1104 ; 4-byte Folded Spill
	buffer_store_dword v1, off, s[36:39], 0 offset:1108 ; 4-byte Folded Spill
	v_fma_f64 v[0:1], v[14:15], v[110:111], v[124:125]
	s_clause 0x3
	buffer_load_dword v10, off, s[36:39], 0 offset:768
	buffer_load_dword v11, off, s[36:39], 0 offset:772
	;; [unrolled: 1-line block ×4, first 2 shown]
	buffer_store_dword v0, off, s[36:39], 0 offset:1112 ; 4-byte Folded Spill
	buffer_store_dword v1, off, s[36:39], 0 offset:1116 ; 4-byte Folded Spill
	v_fma_f64 v[0:1], v[16:17], v[110:111], v[126:127]
	v_fma_f64 v[16:17], v[18:19], v[108:109], 0
	buffer_store_dword v0, off, s[36:39], 0 offset:1136 ; 4-byte Folded Spill
	buffer_store_dword v1, off, s[36:39], 0 offset:1140 ; 4-byte Folded Spill
	v_fma_f64 v[0:1], v[6:7], v[110:111], v[116:117]
	s_clause 0x3
	buffer_load_dword v80, off, s[36:39], 0 offset:608
	buffer_load_dword v81, off, s[36:39], 0 offset:612
	;; [unrolled: 1-line block ×4, first 2 shown]
	v_fma_f64 v[124:125], v[4:5], v[110:111], v[16:17]
	buffer_store_dword v0, off, s[36:39], 0 offset:1144 ; 4-byte Folded Spill
	buffer_store_dword v1, off, s[36:39], 0 offset:1148 ; 4-byte Folded Spill
	s_clause 0xd
	buffer_load_dword v32, off, s[36:39], 0 offset:656
	buffer_load_dword v33, off, s[36:39], 0 offset:660
	;; [unrolled: 1-line block ×14, first 2 shown]
	s_waitcnt vmcnt(0)
	v_fma_f64 v[116:117], v[32:33], v[112:113], v[0:1]
	s_clause 0x1
	buffer_load_dword v0, off, s[36:39], 0 offset:976
	buffer_load_dword v1, off, s[36:39], 0 offset:980
	s_waitcnt vmcnt(0)
	v_fma_f64 v[118:119], v[34:35], v[112:113], v[0:1]
	s_clause 0x5
	buffer_load_dword v0, off, s[36:39], 0 offset:208
	buffer_load_dword v1, off, s[36:39], 0 offset:212
	;; [unrolled: 1-line block ×6, first 2 shown]
	s_waitcnt vmcnt(2)
	v_mov_b32_e32 v99, v3
	v_fma_f64 v[22:23], v[2:3], v[112:113], v[22:23]
	s_waitcnt vmcnt(0)
	v_fma_f64 v[20:21], v[0:1], v[112:113], v[4:5]
	v_mov_b32_e32 v98, v2
	v_mov_b32_e32 v97, v1
	v_mov_b32_e32 v96, v0
	s_clause 0x3
	buffer_load_dword v0, off, s[36:39], 0 offset:16
	buffer_load_dword v1, off, s[36:39], 0 offset:20
	buffer_load_dword v2, off, s[36:39], 0 offset:24
	buffer_load_dword v3, off, s[36:39], 0 offset:28
	s_waitcnt vmcnt(2)
	v_fma_f64 v[24:25], v[0:1], v[112:113], v[24:25]
	s_waitcnt vmcnt(0)
	v_mov_b32_e32 v111, v3
	v_fma_f64 v[26:27], v[2:3], v[112:113], v[26:27]
	v_mov_b32_e32 v110, v2
	v_mov_b32_e32 v109, v1
	v_mov_b32_e32 v108, v0
	s_clause 0x3
	buffer_load_dword v0, off, s[36:39], 0 offset:192
	buffer_load_dword v1, off, s[36:39], 0 offset:196
	buffer_load_dword v2, off, s[36:39], 0 offset:200
	buffer_load_dword v3, off, s[36:39], 0 offset:204
	s_waitcnt vmcnt(2)
	v_fma_f64 v[28:29], v[0:1], v[112:113], v[28:29]
	s_waitcnt vmcnt(0)
	v_mov_b32_e32 v123, v3
	;; [unrolled: 13-line block ×3, first 2 shown]
	v_fma_f64 v[116:117], v[2:3], v[114:115], v[118:119]
	v_mov_b32_e32 v16, v2
	v_mov_b32_e32 v15, v1
	v_mov_b32_e32 v14, v0
	s_clause 0x3
	buffer_load_dword v0, off, s[36:39], 0
	buffer_load_dword v1, off, s[36:39], 0 offset:4
	buffer_load_dword v2, off, s[36:39], 0 offset:8
	;; [unrolled: 1-line block ×3, first 2 shown]
	s_waitcnt vmcnt(2)
	v_fma_f64 v[20:21], v[0:1], v[114:115], v[20:21]
	s_waitcnt vmcnt(0)
	v_mov_b32_e32 v63, v3
	v_fma_f64 v[22:23], v[2:3], v[114:115], v[22:23]
	v_mov_b32_e32 v62, v2
	v_mov_b32_e32 v61, v1
	;; [unrolled: 1-line block ×3, first 2 shown]
	s_clause 0x3
	buffer_load_dword v0, off, s[36:39], 0 offset:160
	buffer_load_dword v1, off, s[36:39], 0 offset:164
	;; [unrolled: 1-line block ×4, first 2 shown]
	s_waitcnt vmcnt(2)
	v_fma_f64 v[24:25], v[0:1], v[114:115], v[24:25]
	s_waitcnt vmcnt(0)
	v_mov_b32_e32 v55, v3
	v_fma_f64 v[26:27], v[2:3], v[114:115], v[26:27]
	v_mov_b32_e32 v54, v2
	v_mov_b32_e32 v53, v1
	;; [unrolled: 1-line block ×3, first 2 shown]
	s_clause 0x9
	buffer_load_dword v0, off, s[36:39], 0 offset:80
	buffer_load_dword v1, off, s[36:39], 0 offset:84
	;; [unrolled: 1-line block ×10, first 2 shown]
	s_waitcnt vmcnt(8)
	v_fma_f64 v[28:29], v[0:1], v[114:115], v[28:29]
	s_waitcnt vmcnt(4)
	v_fma_f64 v[36:37], v[96:97], v[4:5], v[36:37]
	v_fma_f64 v[38:39], v[98:99], v[4:5], v[38:39]
	;; [unrolled: 1-line block ×6, first 2 shown]
	s_waitcnt vmcnt(0)
	v_fma_f64 v[18:19], v[34:35], v[4:5], v[18:19]
	v_fma_f64 v[40:41], v[108:109], v[4:5], v[40:41]
	;; [unrolled: 1-line block ×7, first 2 shown]
	s_clause 0x7
	buffer_load_dword v60, off, s[36:39], 0 offset:224
	buffer_load_dword v61, off, s[36:39], 0 offset:228
	buffer_load_dword v62, off, s[36:39], 0 offset:232
	buffer_load_dword v63, off, s[36:39], 0 offset:236
	buffer_load_dword v0, off, s[36:39], 0 offset:96
	buffer_load_dword v1, off, s[36:39], 0 offset:100
	buffer_load_dword v2, off, s[36:39], 0 offset:104
	buffer_load_dword v3, off, s[36:39], 0 offset:108
	v_fma_f64 v[32:33], v[14:15], v[6:7], v[8:9]
	v_fma_f64 v[34:35], v[16:17], v[6:7], v[18:19]
	;; [unrolled: 1-line block ×4, first 2 shown]
	s_waitcnt vmcnt(6)
	v_fma_f64 v[108:109], v[60:61], v[104:105], v[112:113]
	s_waitcnt vmcnt(2)
	v_fma_f64 v[20:21], v[0:1], v[104:105], v[20:21]
	v_fma_f64 v[110:111], v[62:63], v[104:105], v[116:117]
	s_waitcnt vmcnt(0)
	v_mov_b32_e32 v17, v3
	v_fma_f64 v[22:23], v[2:3], v[104:105], v[22:23]
	v_mov_b32_e32 v16, v2
	v_mov_b32_e32 v15, v1
	;; [unrolled: 1-line block ×3, first 2 shown]
	s_clause 0x3
	buffer_load_dword v0, off, s[36:39], 0 offset:48
	buffer_load_dword v1, off, s[36:39], 0 offset:52
	buffer_load_dword v2, off, s[36:39], 0 offset:56
	buffer_load_dword v3, off, s[36:39], 0 offset:60
	v_fma_f64 v[32:33], v[60:61], v[100:101], v[32:33]
	v_fma_f64 v[34:35], v[62:63], v[100:101], v[34:35]
	;; [unrolled: 1-line block ×4, first 2 shown]
	s_waitcnt vmcnt(2)
	v_fma_f64 v[24:25], v[0:1], v[104:105], v[24:25]
	s_waitcnt vmcnt(0)
	v_mov_b32_e32 v55, v3
	v_fma_f64 v[26:27], v[2:3], v[104:105], v[26:27]
	v_mov_b32_e32 v54, v2
	v_mov_b32_e32 v53, v1
	;; [unrolled: 1-line block ×3, first 2 shown]
	s_clause 0x7
	buffer_load_dword v0, off, s[36:39], 0 offset:128
	buffer_load_dword v1, off, s[36:39], 0 offset:132
	;; [unrolled: 1-line block ×8, first 2 shown]
	v_fma_f64 v[42:43], v[54:55], v[100:101], v[42:43]
	v_fma_f64 v[40:41], v[52:53], v[100:101], v[40:41]
	s_waitcnt vmcnt(6)
	v_fma_f64 v[28:29], v[0:1], v[104:105], v[28:29]
	s_waitcnt vmcnt(4)
	;; [unrolled: 2-line block ×3, first 2 shown]
	v_mov_b32_e32 v117, v7
	v_fma_f64 v[104:105], v[4:5], v[106:107], v[108:109]
	v_fma_f64 v[108:109], v[6:7], v[106:107], v[110:111]
	v_mov_b32_e32 v116, v6
	v_mov_b32_e32 v115, v5
	;; [unrolled: 1-line block ×3, first 2 shown]
	s_clause 0x3
	buffer_load_dword v4, off, s[36:39], 0 offset:352
	buffer_load_dword v5, off, s[36:39], 0 offset:356
	;; [unrolled: 1-line block ×4, first 2 shown]
	v_mov_b32_e32 v99, v3
	v_mov_b32_e32 v98, v2
	;; [unrolled: 1-line block ×4, first 2 shown]
	v_fma_f64 v[32:33], v[114:115], v[102:103], v[32:33]
	v_fma_f64 v[34:35], v[116:117], v[102:103], v[34:35]
	;; [unrolled: 1-line block ×4, first 2 shown]
	s_waitcnt vmcnt(2)
	v_fma_f64 v[20:21], v[4:5], v[106:107], v[20:21]
	s_waitcnt vmcnt(0)
	v_mov_b32_e32 v113, v7
	v_fma_f64 v[22:23], v[6:7], v[106:107], v[22:23]
	v_mov_b32_e32 v112, v6
	v_mov_b32_e32 v111, v5
	;; [unrolled: 1-line block ×3, first 2 shown]
	s_clause 0x3
	buffer_load_dword v4, off, s[36:39], 0 offset:1008
	buffer_load_dword v5, off, s[36:39], 0 offset:1012
	buffer_load_dword v6, off, s[36:39], 0 offset:1016
	buffer_load_dword v7, off, s[36:39], 0 offset:1020
	v_fma_f64 v[126:127], v[112:113], v[102:103], v[38:39]
	v_fma_f64 v[120:121], v[110:111], v[102:103], v[36:37]
	s_waitcnt vmcnt(2)
	v_fma_f64 v[24:25], v[4:5], v[106:107], v[24:25]
	s_waitcnt vmcnt(0)
	v_mov_b32_e32 v0, v4
	v_fma_f64 v[26:27], v[6:7], v[106:107], v[26:27]
	v_mov_b32_e32 v1, v5
	v_mov_b32_e32 v2, v6
	;; [unrolled: 1-line block ×3, first 2 shown]
	s_clause 0x3
	buffer_load_dword v4, off, s[36:39], 0 offset:320
	buffer_load_dword v5, off, s[36:39], 0 offset:324
	;; [unrolled: 1-line block ×4, first 2 shown]
	v_fma_f64 v[18:19], v[0:1], v[102:103], v[40:41]
	v_fma_f64 v[122:123], v[2:3], v[102:103], v[42:43]
	s_waitcnt vmcnt(2)
	v_fma_f64 v[28:29], v[4:5], v[106:107], v[28:29]
	v_fma_f64 v[44:45], v[4:5], v[102:103], v[44:45]
	s_waitcnt vmcnt(0)
	v_fma_f64 v[30:31], v[6:7], v[106:107], v[30:31]
	v_fma_f64 v[46:47], v[6:7], v[102:103], v[46:47]
	s_clause 0x7
	buffer_load_dword v4, off, s[36:39], 0 offset:144
	buffer_load_dword v5, off, s[36:39], 0 offset:148
	;; [unrolled: 1-line block ×8, first 2 shown]
	s_waitcnt vmcnt(2)
	v_fma_f64 v[102:103], v[6:7], v[0:1], v[108:109]
	v_mov_b32_e32 v111, v7
	v_fma_f64 v[100:101], v[4:5], v[0:1], v[104:105]
	v_mov_b32_e32 v110, v6
	v_mov_b32_e32 v109, v5
	;; [unrolled: 1-line block ×3, first 2 shown]
	s_clause 0xb
	buffer_load_dword v4, off, s[36:39], 0 offset:1024
	buffer_load_dword v5, off, s[36:39], 0 offset:1028
	;; [unrolled: 1-line block ×12, first 2 shown]
	s_waitcnt vmcnt(10)
	v_fma_f64 v[20:21], v[4:5], v[0:1], v[20:21]
	s_waitcnt vmcnt(6)
	v_fma_f64 v[24:25], v[14:15], v[0:1], v[24:25]
	;; [unrolled: 2-line block ×3, first 2 shown]
	v_fma_f64 v[22:23], v[6:7], v[0:1], v[22:23]
	s_waitcnt vmcnt(0)
	v_mov_b32_e32 v119, v55
	v_fma_f64 v[30:31], v[54:55], v[0:1], v[30:31]
	v_mov_b32_e32 v118, v54
	v_mov_b32_e32 v117, v53
	;; [unrolled: 1-line block ×3, first 2 shown]
	s_clause 0x3
	buffer_load_dword v52, off, s[36:39], 0 offset:336
	buffer_load_dword v53, off, s[36:39], 0 offset:340
	;; [unrolled: 1-line block ×4, first 2 shown]
	v_fma_f64 v[26:27], v[16:17], v[0:1], v[26:27]
	v_mov_b32_e32 v107, v7
	v_mov_b32_e32 v106, v6
	;; [unrolled: 1-line block ×4, first 2 shown]
	s_waitcnt vmcnt(2)
	v_fma_f64 v[0:1], v[52:53], v[2:3], v[100:101]
	buffer_store_dword v0, off, s[36:39], 0 offset:1360 ; 4-byte Folded Spill
	buffer_store_dword v1, off, s[36:39], 0 offset:1364 ; 4-byte Folded Spill
	s_waitcnt vmcnt(0)
	v_fma_f64 v[0:1], v[54:55], v[2:3], v[102:103]
	buffer_store_dword v0, off, s[36:39], 0 offset:1304 ; 4-byte Folded Spill
	buffer_store_dword v1, off, s[36:39], 0 offset:1308 ; 4-byte Folded Spill
	s_clause 0xb
	buffer_load_dword v100, off, s[36:39], 0 offset:576
	buffer_load_dword v101, off, s[36:39], 0 offset:580
	buffer_load_dword v102, off, s[36:39], 0 offset:584
	buffer_load_dword v103, off, s[36:39], 0 offset:588
	buffer_load_dword v112, off, s[36:39], 0 offset:464
	buffer_load_dword v113, off, s[36:39], 0 offset:468
	buffer_load_dword v114, off, s[36:39], 0 offset:472
	buffer_load_dword v115, off, s[36:39], 0 offset:476
	buffer_load_dword v36, off, s[36:39], 0 offset:112
	buffer_load_dword v37, off, s[36:39], 0 offset:116
	buffer_load_dword v38, off, s[36:39], 0 offset:120
	buffer_load_dword v39, off, s[36:39], 0 offset:124
	s_waitcnt vmcnt(2)
	v_fma_f64 v[0:1], v[36:37], v[2:3], v[20:21]
	buffer_store_dword v0, off, s[36:39], 0 offset:1176 ; 4-byte Folded Spill
	buffer_store_dword v1, off, s[36:39], 0 offset:1180 ; 4-byte Folded Spill
	s_waitcnt vmcnt(0)
	v_fma_f64 v[8:9], v[38:39], v[2:3], v[22:23]
	buffer_store_dword v8, off, s[36:39], 0 offset:1152 ; 4-byte Folded Spill
	buffer_store_dword v9, off, s[36:39], 0 offset:1156 ; 4-byte Folded Spill
	s_clause 0x3
	buffer_load_dword v4, off, s[36:39], 0 offset:240
	buffer_load_dword v5, off, s[36:39], 0 offset:244
	buffer_load_dword v6, off, s[36:39], 0 offset:248
	buffer_load_dword v7, off, s[36:39], 0 offset:252
	s_waitcnt vmcnt(2)
	v_fma_f64 v[8:9], v[4:5], v[2:3], v[24:25]
	buffer_store_dword v8, off, s[36:39], 0 offset:1120 ; 4-byte Folded Spill
	buffer_store_dword v9, off, s[36:39], 0 offset:1124 ; 4-byte Folded Spill
	s_waitcnt vmcnt(0)
	v_fma_f64 v[8:9], v[6:7], v[2:3], v[26:27]
	buffer_store_dword v8, off, s[36:39], 0 offset:976 ; 4-byte Folded Spill
	buffer_store_dword v9, off, s[36:39], 0 offset:980 ; 4-byte Folded Spill
	s_clause 0x3
	buffer_load_dword v96, off, s[36:39], 0 offset:368
	buffer_load_dword v97, off, s[36:39], 0 offset:372
	buffer_load_dword v98, off, s[36:39], 0 offset:376
	buffer_load_dword v99, off, s[36:39], 0 offset:380
	;; [unrolled: 13-line block ×3, first 2 shown]
	s_waitcnt vmcnt(2)
	v_fma_f64 v[20:21], v[108:109], v[0:1], v[32:33]
	v_fma_f64 v[22:23], v[110:111], v[0:1], v[34:35]
	;; [unrolled: 1-line block ×8, first 2 shown]
	s_waitcnt vmcnt(0)
	v_fma_f64 v[0:1], v[52:53], v[2:3], v[20:21]
	buffer_store_dword v0, off, s[36:39], 0 offset:1312 ; 4-byte Folded Spill
	buffer_store_dword v1, off, s[36:39], 0 offset:1316 ; 4-byte Folded Spill
	v_fma_f64 v[0:1], v[54:55], v[2:3], v[22:23]
	buffer_store_dword v0, off, s[36:39], 0 offset:1184 ; 4-byte Folded Spill
	buffer_store_dword v1, off, s[36:39], 0 offset:1188 ; 4-byte Folded Spill
	v_fma_f64 v[0:1], v[36:37], v[2:3], v[24:25]
	v_fma_f64 v[8:9], v[38:39], v[2:3], v[26:27]
	buffer_store_dword v0, off, s[36:39], 0 offset:1168 ; 4-byte Folded Spill
	buffer_store_dword v1, off, s[36:39], 0 offset:1172 ; 4-byte Folded Spill
	;; [unrolled: 1-line block ×4, first 2 shown]
	v_fma_f64 v[8:9], v[4:5], v[2:3], v[28:29]
	buffer_store_dword v8, off, s[36:39], 0 offset:984 ; 4-byte Folded Spill
	buffer_store_dword v9, off, s[36:39], 0 offset:988 ; 4-byte Folded Spill
	v_fma_f64 v[8:9], v[6:7], v[2:3], v[30:31]
	v_fma_f64 v[20:21], v[96:97], v[2:3], v[32:33]
	buffer_store_dword v8, off, s[36:39], 0 offset:800 ; 4-byte Folded Spill
	buffer_store_dword v9, off, s[36:39], 0 offset:804 ; 4-byte Folded Spill
	;; [unrolled: 1-line block ×4, first 2 shown]
	v_fma_f64 v[20:21], v[98:99], v[2:3], v[34:35]
	buffer_store_dword v20, off, s[36:39], 0 offset:256 ; 4-byte Folded Spill
	buffer_store_dword v21, off, s[36:39], 0 offset:260 ; 4-byte Folded Spill
	s_clause 0xb
	buffer_load_dword v34, off, s[36:39], 0 offset:880
	buffer_load_dword v35, off, s[36:39], 0 offset:884
	;; [unrolled: 1-line block ×12, first 2 shown]
	s_waitcnt vmcnt(6)
	v_fma_f64 v[20:21], v[0:1], v[34:35], 0
	s_waitcnt vmcnt(4)
	v_fma_f64 v[22:23], v[2:3], v[34:35], 0
	;; [unrolled: 2-line block ×4, first 2 shown]
	buffer_store_dword v0, off, s[36:39], 0 offset:784 ; 4-byte Folded Spill
	buffer_store_dword v1, off, s[36:39], 0 offset:788 ; 4-byte Folded Spill
	s_clause 0x3
	buffer_load_dword v2, off, s[36:39], 0 offset:176
	buffer_load_dword v3, off, s[36:39], 0 offset:180
	;; [unrolled: 1-line block ×4, first 2 shown]
	s_waitcnt vmcnt(2)
	v_fma_f64 v[24:25], v[2:3], v[34:35], 0
	s_clause 0x3
	buffer_load_dword v0, off, s[36:39], 0 offset:704
	buffer_load_dword v1, off, s[36:39], 0 offset:708
	;; [unrolled: 1-line block ×4, first 2 shown]
	s_waitcnt vmcnt(4)
	v_fma_f64 v[26:27], v[4:5], v[34:35], 0
	s_waitcnt vmcnt(2)
	v_fma_f64 v[120:121], v[0:1], v[36:37], v[24:25]
	;; [unrolled: 2-line block ×3, first 2 shown]
	s_clause 0x7
	buffer_load_dword v0, off, s[36:39], 0 offset:304
	buffer_load_dword v1, off, s[36:39], 0 offset:308
	;; [unrolled: 1-line block ×8, first 2 shown]
	s_waitcnt vmcnt(6)
	v_fma_f64 v[28:29], v[0:1], v[34:35], 0
	s_waitcnt vmcnt(4)
	v_fma_f64 v[30:31], v[2:3], v[34:35], 0
	;; [unrolled: 2-line block ×3, first 2 shown]
	s_clause 0x3
	buffer_load_dword v2, off, s[36:39], 0 offset:288
	buffer_load_dword v3, off, s[36:39], 0 offset:292
	;; [unrolled: 1-line block ×4, first 2 shown]
	s_waitcnt vmcnt(4)
	v_fma_f64 v[30:31], v[6:7], v[36:37], v[30:31]
	s_waitcnt vmcnt(2)
	v_fma_f64 v[32:33], v[2:3], v[34:35], 0
	s_clause 0x3
	buffer_load_dword v0, off, s[36:39], 0 offset:384
	buffer_load_dword v1, off, s[36:39], 0 offset:388
	buffer_load_dword v2, off, s[36:39], 0 offset:392
	buffer_load_dword v3, off, s[36:39], 0 offset:396
	s_waitcnt vmcnt(4)
	v_fma_f64 v[34:35], v[4:5], v[34:35], 0
	s_waitcnt vmcnt(2)
	v_fma_f64 v[8:9], v[0:1], v[36:37], v[32:33]
	s_clause 0x5
	buffer_load_dword v0, off, s[36:39], 0 offset:448
	buffer_load_dword v1, off, s[36:39], 0 offset:452
	;; [unrolled: 1-line block ×6, first 2 shown]
	s_waitcnt vmcnt(6)
	v_fma_f64 v[104:105], v[2:3], v[36:37], v[34:35]
	s_waitcnt vmcnt(2)
	v_fma_f64 v[36:37], v[20:21], v[64:65], v[0:1]
	s_clause 0x1
	buffer_load_dword v0, off, s[36:39], 0 offset:992
	buffer_load_dword v1, off, s[36:39], 0 offset:996
	v_fma_f64 v[20:21], v[20:21], v[112:113], v[126:127]
	s_waitcnt vmcnt(0)
	v_fma_f64 v[38:39], v[22:23], v[64:65], v[0:1]
	s_clause 0x5
	buffer_load_dword v0, off, s[36:39], 0 offset:1000
	buffer_load_dword v1, off, s[36:39], 0 offset:1004
	;; [unrolled: 1-line block ×6, first 2 shown]
	s_waitcnt vmcnt(2)
	v_fma_f64 v[40:41], v[24:25], v[64:65], v[0:1]
	s_clause 0x1
	buffer_load_dword v0, off, s[36:39], 0 offset:1104
	buffer_load_dword v1, off, s[36:39], 0 offset:1108
	v_fma_f64 v[24:25], v[24:25], v[112:113], v[120:121]
	s_waitcnt vmcnt(0)
	v_fma_f64 v[42:43], v[26:27], v[64:65], v[0:1]
	s_clause 0x5
	buffer_load_dword v14, off, s[36:39], 0 offset:16
	buffer_load_dword v15, off, s[36:39], 0 offset:20
	;; [unrolled: 1-line block ×6, first 2 shown]
	v_fma_f64 v[26:27], v[26:27], v[112:113], v[110:111]
	s_waitcnt vmcnt(2)
	v_mov_b32_e32 v4, v14
	v_mov_b32_e32 v5, v15
	s_waitcnt vmcnt(0)
	v_fma_f64 v[44:45], v[14:15], v[64:65], v[0:1]
	s_clause 0x1
	buffer_load_dword v0, off, s[36:39], 0 offset:1136
	buffer_load_dword v1, off, s[36:39], 0 offset:1140
	v_mov_b32_e32 v6, v16
	v_mov_b32_e32 v7, v17
	s_clause 0x5
	buffer_load_dword v32, off, s[36:39], 0 offset:192
	buffer_load_dword v33, off, s[36:39], 0 offset:196
	;; [unrolled: 1-line block ×6, first 2 shown]
	v_fma_f64 v[28:29], v[4:5], v[112:113], v[28:29]
	v_fma_f64 v[30:31], v[6:7], v[112:113], v[30:31]
	s_waitcnt vmcnt(6)
	v_fma_f64 v[46:47], v[16:17], v[64:65], v[0:1]
	s_clause 0x7
	buffer_load_dword v0, off, s[36:39], 0 offset:64
	buffer_load_dword v1, off, s[36:39], 0 offset:68
	;; [unrolled: 1-line block ×4, first 2 shown]
	buffer_load_dword v116, off, s[36:39], 0
	buffer_load_dword v117, off, s[36:39], 0 offset:4
	buffer_load_dword v118, off, s[36:39], 0 offset:8
	;; [unrolled: 1-line block ×3, first 2 shown]
	s_waitcnt vmcnt(12)
	v_fma_f64 v[18:19], v[32:33], v[64:65], v[124:125]
	s_waitcnt vmcnt(8)
	v_fma_f64 v[16:17], v[34:35], v[64:65], v[14:15]
	v_fma_f64 v[32:33], v[32:33], v[112:113], v[8:9]
	;; [unrolled: 1-line block ×3, first 2 shown]
	s_waitcnt vmcnt(6)
	v_fma_f64 v[14:15], v[0:1], v[66:67], v[36:37]
	s_waitcnt vmcnt(2)
	v_fma_f64 v[106:107], v[116:117], v[66:67], v[40:41]
	v_fma_f64 v[64:65], v[2:3], v[66:67], v[38:39]
	v_mov_b32_e32 v39, v3
	v_mov_b32_e32 v38, v2
	;; [unrolled: 1-line block ×4, first 2 shown]
	s_waitcnt vmcnt(0)
	v_fma_f64 v[108:109], v[118:119], v[66:67], v[42:43]
	s_clause 0x9
	buffer_load_dword v40, off, s[36:39], 0 offset:160
	buffer_load_dword v41, off, s[36:39], 0 offset:164
	;; [unrolled: 1-line block ×10, first 2 shown]
	v_fma_f64 v[20:21], v[36:37], v[114:115], v[20:21]
	v_fma_f64 v[24:25], v[116:117], v[114:115], v[24:25]
	;; [unrolled: 1-line block ×3, first 2 shown]
	v_mov_b32_e32 v119, v63
	v_mov_b32_e32 v118, v62
	;; [unrolled: 1-line block ×4, first 2 shown]
	v_fma_f64 v[36:37], v[60:61], v[68:69], v[14:15]
	v_fma_f64 v[20:21], v[116:117], v[76:77], v[20:21]
	s_waitcnt vmcnt(8)
	v_fma_f64 v[44:45], v[40:41], v[66:67], v[44:45]
	s_waitcnt vmcnt(4)
	v_fma_f64 v[18:19], v[122:123], v[66:67], v[18:19]
	v_fma_f64 v[46:47], v[42:43], v[66:67], v[46:47]
	s_waitcnt vmcnt(2)
	v_fma_f64 v[16:17], v[124:125], v[66:67], v[16:17]
	s_waitcnt vmcnt(0)
	v_fma_f64 v[22:23], v[22:23], v[112:113], v[0:1]
	s_clause 0x3
	buffer_load_dword v0, off, s[36:39], 0 offset:96
	buffer_load_dword v1, off, s[36:39], 0 offset:100
	;; [unrolled: 1-line block ×4, first 2 shown]
	v_fma_f64 v[8:9], v[40:41], v[114:115], v[28:29]
	v_fma_f64 v[66:67], v[42:43], v[114:115], v[30:31]
	;; [unrolled: 1-line block ×4, first 2 shown]
	s_clause 0x7
	buffer_load_dword v28, off, s[36:39], 0 offset:48
	buffer_load_dword v29, off, s[36:39], 0 offset:52
	;; [unrolled: 1-line block ×8, first 2 shown]
	v_fma_f64 v[22:23], v[38:39], v[114:115], v[22:23]
	v_fma_f64 v[38:39], v[62:63], v[68:69], v[64:65]
	;; [unrolled: 1-line block ×3, first 2 shown]
	s_waitcnt vmcnt(10)
	v_fma_f64 v[40:41], v[0:1], v[68:69], v[106:107]
	s_waitcnt vmcnt(8)
	v_mov_b32_e32 v115, v3
	v_fma_f64 v[42:43], v[2:3], v[68:69], v[108:109]
	v_mov_b32_e32 v114, v2
	v_mov_b32_e32 v113, v1
	;; [unrolled: 1-line block ×3, first 2 shown]
	s_clause 0x3
	buffer_load_dword v0, off, s[36:39], 0 offset:688
	buffer_load_dword v1, off, s[36:39], 0 offset:692
	;; [unrolled: 1-line block ×4, first 2 shown]
	s_waitcnt vmcnt(10)
	v_fma_f64 v[44:45], v[28:29], v[68:69], v[44:45]
	s_waitcnt vmcnt(8)
	v_fma_f64 v[46:47], v[30:31], v[68:69], v[46:47]
	;; [unrolled: 2-line block ×4, first 2 shown]
	v_fma_f64 v[24:25], v[112:113], v[76:77], v[24:25]
	v_fma_f64 v[26:27], v[114:115], v[76:77], v[26:27]
	;; [unrolled: 1-line block ×6, first 2 shown]
	s_waitcnt vmcnt(2)
	v_fma_f64 v[68:69], v[0:1], v[70:71], v[36:37]
	s_waitcnt vmcnt(0)
	v_fma_f64 v[64:65], v[2:3], v[70:71], v[38:39]
	v_mov_b32_e32 v39, v3
	v_mov_b32_e32 v38, v2
	;; [unrolled: 1-line block ×4, first 2 shown]
	s_clause 0x3
	buffer_load_dword v0, off, s[36:39], 0 offset:352
	buffer_load_dword v1, off, s[36:39], 0 offset:356
	;; [unrolled: 1-line block ×4, first 2 shown]
	v_fma_f64 v[22:23], v[38:39], v[78:79], v[22:23]
	v_fma_f64 v[20:21], v[36:37], v[78:79], v[20:21]
	s_waitcnt vmcnt(2)
	v_fma_f64 v[40:41], v[0:1], v[70:71], v[40:41]
	s_waitcnt vmcnt(0)
	v_mov_b32_e32 v63, v3
	v_fma_f64 v[42:43], v[2:3], v[70:71], v[42:43]
	v_mov_b32_e32 v62, v2
	v_mov_b32_e32 v61, v1
	;; [unrolled: 1-line block ×3, first 2 shown]
	s_clause 0x3
	buffer_load_dword v0, off, s[36:39], 0 offset:1008
	buffer_load_dword v1, off, s[36:39], 0 offset:1012
	;; [unrolled: 1-line block ×4, first 2 shown]
	v_fma_f64 v[26:27], v[62:63], v[78:79], v[26:27]
	v_fma_f64 v[24:25], v[60:61], v[78:79], v[24:25]
	s_waitcnt vmcnt(2)
	v_fma_f64 v[44:45], v[0:1], v[70:71], v[44:45]
	s_waitcnt vmcnt(0)
	v_mov_b32_e32 v107, v3
	v_fma_f64 v[46:47], v[2:3], v[70:71], v[46:47]
	v_mov_b32_e32 v106, v2
	v_mov_b32_e32 v105, v1
	;; [unrolled: 1-line block ×3, first 2 shown]
	s_clause 0x7
	buffer_load_dword v0, off, s[36:39], 0 offset:320
	buffer_load_dword v1, off, s[36:39], 0 offset:324
	;; [unrolled: 1-line block ×8, first 2 shown]
	v_fma_f64 v[30:31], v[106:107], v[78:79], v[30:31]
	v_fma_f64 v[28:29], v[104:105], v[78:79], v[28:29]
	s_waitcnt vmcnt(6)
	v_fma_f64 v[18:19], v[0:1], v[70:71], v[18:19]
	s_waitcnt vmcnt(2)
	v_fma_f64 v[36:37], v[116:117], v[72:73], v[68:69]
	v_fma_f64 v[70:71], v[2:3], v[70:71], v[16:17]
	v_mov_b32_e32 v17, v3
	v_mov_b32_e32 v16, v2
	;; [unrolled: 1-line block ×4, first 2 shown]
	s_waitcnt vmcnt(0)
	v_fma_f64 v[38:39], v[118:119], v[72:73], v[64:65]
	v_fma_f64 v[34:35], v[16:17], v[78:79], v[34:35]
	;; [unrolled: 1-line block ×3, first 2 shown]
	s_clause 0xb
	buffer_load_dword v76, off, s[36:39], 0 offset:1024
	buffer_load_dword v77, off, s[36:39], 0 offset:1028
	;; [unrolled: 1-line block ×12, first 2 shown]
	s_waitcnt vmcnt(10)
	v_fma_f64 v[40:41], v[76:77], v[72:73], v[40:41]
	s_waitcnt vmcnt(6)
	v_fma_f64 v[44:45], v[124:125], v[72:73], v[44:45]
	;; [unrolled: 2-line block ×3, first 2 shown]
	v_fma_f64 v[42:43], v[78:79], v[72:73], v[42:43]
	s_waitcnt vmcnt(0)
	v_mov_b32_e32 v67, v3
	v_mov_b32_e32 v66, v2
	;; [unrolled: 1-line block ×4, first 2 shown]
	v_fma_f64 v[0:1], v[52:53], v[74:75], v[36:37]
	buffer_store_dword v0, off, s[36:39], 0 offset:1296 ; 4-byte Folded Spill
	buffer_store_dword v1, off, s[36:39], 0 offset:1300 ; 4-byte Folded Spill
	v_fma_f64 v[0:1], v[54:55], v[74:75], v[38:39]
	buffer_store_dword v0, off, s[36:39], 0 offset:1288 ; 4-byte Folded Spill
	buffer_store_dword v1, off, s[36:39], 0 offset:1292 ; 4-byte Folded Spill
	s_clause 0x3
	buffer_load_dword v104, off, s[36:39], 0 offset:112
	buffer_load_dword v105, off, s[36:39], 0 offset:116
	;; [unrolled: 1-line block ×4, first 2 shown]
	v_fma_f64 v[46:47], v[126:127], v[72:73], v[46:47]
	v_fma_f64 v[16:17], v[2:3], v[72:73], v[70:71]
	v_mov_b32_e32 v108, v124
	v_mov_b32_e32 v109, v125
	;; [unrolled: 1-line block ×4, first 2 shown]
	s_waitcnt vmcnt(2)
	v_fma_f64 v[0:1], v[104:105], v[74:75], v[40:41]
	buffer_store_dword v0, off, s[36:39], 0 offset:1208 ; 4-byte Folded Spill
	buffer_store_dword v1, off, s[36:39], 0 offset:1212 ; 4-byte Folded Spill
	s_waitcnt vmcnt(0)
	v_fma_f64 v[0:1], v[106:107], v[74:75], v[42:43]
	buffer_store_dword v0, off, s[36:39], 0 offset:1112 ; 4-byte Folded Spill
	buffer_store_dword v1, off, s[36:39], 0 offset:1116 ; 4-byte Folded Spill
	s_clause 0x3
	buffer_load_dword v60, off, s[36:39], 0 offset:240
	buffer_load_dword v61, off, s[36:39], 0 offset:244
	;; [unrolled: 1-line block ×4, first 2 shown]
	s_waitcnt vmcnt(2)
	v_fma_f64 v[0:1], v[60:61], v[74:75], v[44:45]
	buffer_store_dword v0, off, s[36:39], 0 offset:1104 ; 4-byte Folded Spill
	buffer_store_dword v1, off, s[36:39], 0 offset:1108 ; 4-byte Folded Spill
	s_waitcnt vmcnt(0)
	v_fma_f64 v[0:1], v[62:63], v[74:75], v[46:47]
	buffer_store_dword v0, off, s[36:39], 0 offset:992 ; 4-byte Folded Spill
	buffer_store_dword v1, off, s[36:39], 0 offset:996 ; 4-byte Folded Spill
	v_fma_f64 v[0:1], v[96:97], v[74:75], v[18:19]
	buffer_store_dword v0, off, s[36:39], 0 offset:784 ; 4-byte Folded Spill
	buffer_store_dword v1, off, s[36:39], 0 offset:788 ; 4-byte Folded Spill
	;; [unrolled: 3-line block ×3, first 2 shown]
	s_clause 0x7
	buffer_load_dword v36, off, s[36:39], 0 offset:816
	buffer_load_dword v37, off, s[36:39], 0 offset:820
	buffer_load_dword v38, off, s[36:39], 0 offset:824
	buffer_load_dword v39, off, s[36:39], 0 offset:828
	buffer_load_dword v0, off, s[36:39], 0 offset:896
	buffer_load_dword v1, off, s[36:39], 0 offset:900
	buffer_load_dword v2, off, s[36:39], 0 offset:904
	buffer_load_dword v3, off, s[36:39], 0 offset:908
	s_waitcnt vmcnt(6)
	v_fma_f64 v[16:17], v[116:117], v[36:37], v[20:21]
	v_fma_f64 v[18:19], v[118:119], v[36:37], v[22:23]
	;; [unrolled: 1-line block ×8, first 2 shown]
	s_waitcnt vmcnt(4)
	v_fma_f64 v[4:5], v[52:53], v[38:39], v[16:17]
	buffer_store_dword v4, off, s[36:39], 0 offset:1216 ; 4-byte Folded Spill
	buffer_store_dword v5, off, s[36:39], 0 offset:1220 ; 4-byte Folded Spill
	v_fma_f64 v[4:5], v[54:55], v[38:39], v[18:19]
	buffer_store_dword v4, off, s[36:39], 0 offset:1200 ; 4-byte Folded Spill
	buffer_store_dword v5, off, s[36:39], 0 offset:1204 ; 4-byte Folded Spill
	v_fma_f64 v[4:5], v[104:105], v[38:39], v[20:21]
	v_fma_f64 v[8:9], v[106:107], v[38:39], v[22:23]
	buffer_store_dword v4, off, s[36:39], 0 offset:1192 ; 4-byte Folded Spill
	buffer_store_dword v5, off, s[36:39], 0 offset:1196 ; 4-byte Folded Spill
	;; [unrolled: 1-line block ×4, first 2 shown]
	v_fma_f64 v[8:9], v[60:61], v[38:39], v[24:25]
	buffer_store_dword v8, off, s[36:39], 0 offset:880 ; 4-byte Folded Spill
	buffer_store_dword v9, off, s[36:39], 0 offset:884 ; 4-byte Folded Spill
	v_fma_f64 v[8:9], v[62:63], v[38:39], v[26:27]
	buffer_store_dword v8, off, s[36:39], 0 offset:864 ; 4-byte Folded Spill
	buffer_store_dword v9, off, s[36:39], 0 offset:868 ; 4-byte Folded Spill
	;; [unrolled: 3-line block ×4, first 2 shown]
	s_clause 0x13
	buffer_load_dword v68, off, s[36:39], 0 offset:640
	buffer_load_dword v69, off, s[36:39], 0 offset:644
	;; [unrolled: 1-line block ×20, first 2 shown]
	s_waitcnt vmcnt(18)
	v_fma_f64 v[16:17], v[68:69], v[84:85], 0
	v_fma_f64 v[32:33], v[68:69], v[10:11], 0
	s_waitcnt vmcnt(16)
	v_fma_f64 v[18:19], v[70:71], v[84:85], 0
	s_waitcnt vmcnt(12)
	v_mov_b32_e32 v37, v7
	v_mov_b32_e32 v36, v6
	;; [unrolled: 1-line block ×4, first 2 shown]
	s_waitcnt vmcnt(2)
	v_fma_f64 v[24:25], v[112:113], v[84:85], 0
	s_waitcnt vmcnt(0)
	v_fma_f64 v[26:27], v[114:115], v[84:85], 0
	v_fma_f64 v[40:41], v[112:113], v[10:11], 0
	;; [unrolled: 1-line block ×8, first 2 shown]
	s_clause 0x7
	buffer_load_dword v4, off, s[36:39], 0 offset:32
	buffer_load_dword v5, off, s[36:39], 0 offset:36
	;; [unrolled: 1-line block ×8, first 2 shown]
	v_fma_f64 v[34:35], v[70:71], v[10:11], 0
	v_fma_f64 v[20:21], v[104:105], v[86:87], v[20:21]
	;; [unrolled: 1-line block ×7, first 2 shown]
	v_mov_b32_e32 v104, v108
	v_mov_b32_e32 v105, v109
	;; [unrolled: 1-line block ×8, first 2 shown]
	s_waitcnt vmcnt(6)
	v_fma_f64 v[24:25], v[4:5], v[86:87], v[24:25]
	s_waitcnt vmcnt(2)
	v_fma_f64 v[28:29], v[60:61], v[84:85], 0
	v_mov_b32_e32 v45, v7
	v_fma_f64 v[26:27], v[6:7], v[86:87], v[26:27]
	v_mov_b32_e32 v44, v6
	v_mov_b32_e32 v43, v5
	;; [unrolled: 1-line block ×3, first 2 shown]
	s_clause 0x7
	buffer_load_dword v4, off, s[36:39], 0 offset:384
	buffer_load_dword v5, off, s[36:39], 0 offset:388
	;; [unrolled: 1-line block ×8, first 2 shown]
	s_waitcnt vmcnt(8)
	v_fma_f64 v[30:31], v[62:63], v[84:85], 0
	v_fma_f64 v[46:47], v[62:63], v[10:11], 0
	;; [unrolled: 1-line block ×6, first 2 shown]
	s_waitcnt vmcnt(6)
	v_fma_f64 v[28:29], v[4:5], v[86:87], v[28:29]
	s_waitcnt vmcnt(2)
	v_fma_f64 v[16:17], v[120:121], v[48:49], v[16:17]
	v_fma_f64 v[30:31], v[6:7], v[86:87], v[30:31]
	v_mov_b32_e32 v87, v7
	s_waitcnt vmcnt(0)
	v_mov_b32_e32 v8, v120
	v_mov_b32_e32 v86, v6
	;; [unrolled: 1-line block ×4, first 2 shown]
	v_fma_f64 v[18:19], v[122:123], v[48:49], v[18:19]
	v_mov_b32_e32 v9, v121
	v_mov_b32_e32 v10, v122
	;; [unrolled: 1-line block ×3, first 2 shown]
	s_clause 0xb
	buffer_load_dword v120, off, s[36:39], 0 offset:208
	buffer_load_dword v121, off, s[36:39], 0 offset:212
	;; [unrolled: 1-line block ×12, first 2 shown]
	v_fma_f64 v[44:45], v[84:85], v[12:13], v[44:45]
	v_fma_f64 v[46:47], v[86:87], v[12:13], v[46:47]
	s_waitcnt vmcnt(10)
	v_fma_f64 v[20:21], v[120:121], v[48:49], v[20:21]
	s_waitcnt vmcnt(6)
	;; [unrolled: 2-line block ×3, first 2 shown]
	v_fma_f64 v[28:29], v[4:5], v[48:49], v[28:29]
	v_fma_f64 v[22:23], v[122:123], v[48:49], v[22:23]
	s_waitcnt vmcnt(0)
	v_mov_b32_e32 v99, v7
	v_fma_f64 v[30:31], v[6:7], v[48:49], v[30:31]
	v_mov_b32_e32 v98, v6
	v_mov_b32_e32 v97, v5
	v_mov_b32_e32 v96, v4
	s_clause 0x3
	buffer_load_dword v4, off, s[36:39], 0 offset:64
	buffer_load_dword v5, off, s[36:39], 0 offset:68
	;; [unrolled: 1-line block ×4, first 2 shown]
	v_fma_f64 v[26:27], v[126:127], v[48:49], v[26:27]
	v_fma_f64 v[36:37], v[120:121], v[56:57], v[36:37]
	v_fma_f64 v[38:39], v[122:123], v[56:57], v[38:39]
	v_fma_f64 v[40:41], v[124:125], v[56:57], v[40:41]
	v_fma_f64 v[42:43], v[126:127], v[56:57], v[42:43]
	v_fma_f64 v[44:45], v[96:97], v[56:57], v[44:45]
	v_fma_f64 v[46:47], v[98:99], v[56:57], v[46:47]
	v_mov_b32_e32 v99, v87
	v_mov_b32_e32 v98, v86
	;; [unrolled: 1-line block ×4, first 2 shown]
	s_waitcnt vmcnt(2)
	v_fma_f64 v[16:17], v[4:5], v[50:51], v[16:17]
	s_waitcnt vmcnt(0)
	v_mov_b32_e32 v71, v7
	v_fma_f64 v[18:19], v[6:7], v[50:51], v[18:19]
	v_mov_b32_e32 v70, v6
	v_mov_b32_e32 v69, v5
	;; [unrolled: 1-line block ×3, first 2 shown]
	s_clause 0x3
	buffer_load_dword v4, off, s[36:39], 0
	buffer_load_dword v5, off, s[36:39], 0 offset:4
	buffer_load_dword v6, off, s[36:39], 0 offset:8
	;; [unrolled: 1-line block ×3, first 2 shown]
	s_waitcnt vmcnt(2)
	v_fma_f64 v[20:21], v[4:5], v[50:51], v[20:21]
	s_waitcnt vmcnt(0)
	v_mov_b32_e32 v15, v7
	v_fma_f64 v[22:23], v[6:7], v[50:51], v[22:23]
	v_mov_b32_e32 v14, v6
	v_mov_b32_e32 v13, v5
	;; [unrolled: 1-line block ×3, first 2 shown]
	s_clause 0x3
	buffer_load_dword v4, off, s[36:39], 0 offset:160
	buffer_load_dword v5, off, s[36:39], 0 offset:164
	;; [unrolled: 1-line block ×4, first 2 shown]
	v_fma_f64 v[38:39], v[14:15], v[58:59], v[38:39]
	v_fma_f64 v[36:37], v[12:13], v[58:59], v[36:37]
	s_waitcnt vmcnt(2)
	v_fma_f64 v[24:25], v[4:5], v[50:51], v[24:25]
	s_waitcnt vmcnt(0)
	v_mov_b32_e32 v55, v7
	v_fma_f64 v[26:27], v[6:7], v[50:51], v[26:27]
	v_mov_b32_e32 v54, v6
	v_mov_b32_e32 v53, v5
	;; [unrolled: 1-line block ×3, first 2 shown]
	s_clause 0x7
	buffer_load_dword v4, off, s[36:39], 0 offset:80
	buffer_load_dword v5, off, s[36:39], 0 offset:84
	;; [unrolled: 1-line block ×8, first 2 shown]
	v_fma_f64 v[42:43], v[54:55], v[58:59], v[42:43]
	v_fma_f64 v[40:41], v[52:53], v[58:59], v[40:41]
	s_waitcnt vmcnt(6)
	v_fma_f64 v[28:29], v[4:5], v[50:51], v[28:29]
	s_waitcnt vmcnt(2)
	v_fma_f64 v[16:17], v[12:13], v[80:81], v[16:17]
	v_fma_f64 v[30:31], v[6:7], v[50:51], v[30:31]
	v_mov_b32_e32 v51, v7
	v_mov_b32_e32 v50, v6
	;; [unrolled: 1-line block ×8, first 2 shown]
	v_fma_f64 v[44:45], v[48:49], v[58:59], v[44:45]
	v_fma_f64 v[46:47], v[50:51], v[58:59], v[46:47]
	;; [unrolled: 1-line block ×3, first 2 shown]
	s_clause 0x3
	buffer_load_dword v48, off, s[36:39], 0 offset:96
	buffer_load_dword v49, off, s[36:39], 0 offset:100
	;; [unrolled: 1-line block ×4, first 2 shown]
	v_fma_f64 v[34:35], v[6:7], v[56:57], v[34:35]
	s_waitcnt vmcnt(4)
	v_fma_f64 v[18:19], v[14:15], v[80:81], v[18:19]
	v_fma_f64 v[32:33], v[68:69], v[58:59], v[32:33]
	;; [unrolled: 1-line block ×3, first 2 shown]
	s_clause 0x17
	buffer_load_dword v56, off, s[36:39], 0 offset:48
	buffer_load_dword v57, off, s[36:39], 0 offset:52
	;; [unrolled: 1-line block ×24, first 2 shown]
	s_waitcnt vmcnt(26)
	v_fma_f64 v[20:21], v[48:49], v[80:81], v[20:21]
	s_waitcnt vmcnt(24)
	v_fma_f64 v[22:23], v[50:51], v[80:81], v[22:23]
	s_waitcnt vmcnt(22)
	v_fma_f64 v[24:25], v[56:57], v[80:81], v[24:25]
	s_waitcnt vmcnt(18)
	v_fma_f64 v[28:29], v[52:53], v[80:81], v[28:29]
	s_waitcnt vmcnt(14)
	v_fma_f64 v[16:17], v[120:121], v[82:83], v[16:17]
	v_fma_f64 v[30:31], v[54:55], v[80:81], v[30:31]
	s_waitcnt vmcnt(10)
	v_fma_f64 v[20:21], v[68:69], v[82:83], v[20:21]
	s_waitcnt vmcnt(8)
	v_fma_f64 v[22:23], v[70:71], v[82:83], v[22:23]
	v_fma_f64 v[18:19], v[122:123], v[82:83], v[18:19]
	s_waitcnt vmcnt(0)
	v_mov_b32_e32 v11, v7
	v_mov_b32_e32 v10, v6
	;; [unrolled: 1-line block ×4, first 2 shown]
	v_fma_f64 v[26:27], v[58:59], v[80:81], v[26:27]
	v_fma_f64 v[24:25], v[124:125], v[82:83], v[24:25]
	;; [unrolled: 1-line block ×5, first 2 shown]
	v_mov_b32_e32 v4, v12
	v_mov_b32_e32 v5, v13
	;; [unrolled: 1-line block ×4, first 2 shown]
	v_fma_f64 v[20:21], v[76:77], v[92:93], v[20:21]
	v_fma_f64 v[22:23], v[78:79], v[92:93], v[22:23]
	;; [unrolled: 1-line block ×5, first 2 shown]
	v_mov_b32_e32 v4, v48
	v_mov_b32_e32 v5, v49
	v_mov_b32_e32 v6, v50
	v_mov_b32_e32 v7, v51
	v_fma_f64 v[26:27], v[126:127], v[82:83], v[26:27]
	v_fma_f64 v[36:37], v[4:5], v[88:89], v[36:37]
	v_fma_f64 v[38:39], v[6:7], v[88:89], v[38:39]
	v_mov_b32_e32 v4, v56
	v_mov_b32_e32 v5, v57
	v_mov_b32_e32 v6, v58
	v_mov_b32_e32 v7, v59
	v_fma_f64 v[24:25], v[104:105], v[92:93], v[24:25]
	v_fma_f64 v[40:41], v[4:5], v[88:89], v[40:41]
	v_fma_f64 v[42:43], v[6:7], v[88:89], v[42:43]
	;; [unrolled: 7-line block ×3, first 2 shown]
	v_fma_f64 v[34:35], v[122:123], v[90:91], v[34:35]
	v_fma_f64 v[46:47], v[6:7], v[88:89], v[46:47]
	v_mov_b32_e32 v4, v68
	v_mov_b32_e32 v5, v69
	;; [unrolled: 1-line block ×8, first 2 shown]
	s_clause 0x3
	buffer_load_dword v76, off, s[36:39], 0 offset:336
	buffer_load_dword v77, off, s[36:39], 0 offset:340
	;; [unrolled: 1-line block ×4, first 2 shown]
	v_fma_f64 v[48:49], v[4:5], v[90:91], v[36:37]
	v_fma_f64 v[36:37], v[108:109], v[92:93], v[28:29]
	;; [unrolled: 1-line block ×8, first 2 shown]
	v_mov_b32_e32 v10, v116
	v_mov_b32_e32 v11, v117
	;; [unrolled: 1-line block ×4, first 2 shown]
	s_waitcnt vmcnt(2)
	v_fma_f64 v[4:5], v[76:77], v[94:95], v[16:17]
	buffer_store_dword v4, off, s[36:39], 0 offset:1352 ; 4-byte Folded Spill
	buffer_store_dword v5, off, s[36:39], 0 offset:1356 ; 4-byte Folded Spill
	s_waitcnt vmcnt(0)
	v_fma_f64 v[4:5], v[78:79], v[94:95], v[18:19]
	buffer_store_dword v4, off, s[36:39], 0 offset:1344 ; 4-byte Folded Spill
	buffer_store_dword v5, off, s[36:39], 0 offset:1348 ; 4-byte Folded Spill
	s_clause 0x3
	buffer_load_dword v64, off, s[36:39], 0 offset:112
	buffer_load_dword v65, off, s[36:39], 0 offset:116
	;; [unrolled: 1-line block ×4, first 2 shown]
	s_waitcnt vmcnt(2)
	v_fma_f64 v[4:5], v[64:65], v[94:95], v[20:21]
	buffer_store_dword v4, off, s[36:39], 0 offset:1336 ; 4-byte Folded Spill
	buffer_store_dword v5, off, s[36:39], 0 offset:1340 ; 4-byte Folded Spill
	s_waitcnt vmcnt(0)
	v_fma_f64 v[8:9], v[66:67], v[94:95], v[22:23]
	v_mov_b32_e32 v28, v64
	buffer_store_dword v8, off, s[36:39], 0 offset:1144 ; 4-byte Folded Spill
	buffer_store_dword v9, off, s[36:39], 0 offset:1148 ; 4-byte Folded Spill
	v_mov_b32_e32 v29, v65
	v_mov_b32_e32 v30, v66
	;; [unrolled: 1-line block ×3, first 2 shown]
	s_clause 0x3
	buffer_load_dword v64, off, s[36:39], 0 offset:240
	buffer_load_dword v65, off, s[36:39], 0 offset:244
	;; [unrolled: 1-line block ×4, first 2 shown]
	s_waitcnt vmcnt(2)
	v_fma_f64 v[8:9], v[64:65], v[94:95], v[24:25]
	buffer_store_dword v8, off, s[36:39], 0 offset:1136 ; 4-byte Folded Spill
	buffer_store_dword v9, off, s[36:39], 0 offset:1140 ; 4-byte Folded Spill
	s_waitcnt vmcnt(0)
	v_fma_f64 v[8:9], v[66:67], v[94:95], v[26:27]
	buffer_store_dword v8, off, s[36:39], 0 offset:848 ; 4-byte Folded Spill
	buffer_store_dword v9, off, s[36:39], 0 offset:852 ; 4-byte Folded Spill
	s_clause 0x3
	buffer_load_dword v116, off, s[36:39], 0 offset:368
	buffer_load_dword v117, off, s[36:39], 0 offset:372
	;; [unrolled: 1-line block ×4, first 2 shown]
	s_waitcnt vmcnt(2)
	v_fma_f64 v[16:17], v[116:117], v[94:95], v[36:37]
	buffer_store_dword v16, off, s[36:39], 0 offset:736 ; 4-byte Folded Spill
	buffer_store_dword v17, off, s[36:39], 0 offset:740 ; 4-byte Folded Spill
	s_waitcnt vmcnt(0)
	v_fma_f64 v[16:17], v[118:119], v[94:95], v[54:55]
	buffer_store_dword v16, off, s[36:39], 0 offset:592 ; 4-byte Folded Spill
	buffer_store_dword v17, off, s[36:39], 0 offset:596 ; 4-byte Folded Spill
	s_clause 0x3
	buffer_load_dword v4, off, s[36:39], 0 offset:912
	buffer_load_dword v5, off, s[36:39], 0 offset:916
	;; [unrolled: 1-line block ×4, first 2 shown]
	s_waitcnt vmcnt(2)
	v_fma_f64 v[16:17], v[10:11], v[4:5], v[32:33]
	v_fma_f64 v[18:19], v[12:13], v[4:5], v[34:35]
	v_fma_f64 v[20:21], v[68:69], v[4:5], v[48:49]
	v_fma_f64 v[22:23], v[70:71], v[4:5], v[38:39]
	v_fma_f64 v[24:25], v[104:105], v[4:5], v[50:51]
	v_fma_f64 v[26:27], v[106:107], v[4:5], v[42:43]
	v_fma_f64 v[32:33], v[108:109], v[4:5], v[44:45]
	v_fma_f64 v[34:35], v[110:111], v[4:5], v[46:47]
	s_waitcnt vmcnt(0)
	v_fma_f64 v[4:5], v[76:77], v[6:7], v[16:17]
	buffer_store_dword v4, off, s[36:39], 0 offset:1368 ; 4-byte Folded Spill
	buffer_store_dword v5, off, s[36:39], 0 offset:1372 ; 4-byte Folded Spill
	v_fma_f64 v[4:5], v[78:79], v[6:7], v[18:19]
	buffer_store_dword v4, off, s[36:39], 0 offset:1328 ; 4-byte Folded Spill
	buffer_store_dword v5, off, s[36:39], 0 offset:1332 ; 4-byte Folded Spill
	v_fma_f64 v[4:5], v[28:29], v[6:7], v[20:21]
	v_fma_f64 v[8:9], v[30:31], v[6:7], v[22:23]
	buffer_store_dword v4, off, s[36:39], 0 offset:1320 ; 4-byte Folded Spill
	buffer_store_dword v5, off, s[36:39], 0 offset:1324 ; 4-byte Folded Spill
	;; [unrolled: 1-line block ×4, first 2 shown]
	v_fma_f64 v[8:9], v[64:65], v[6:7], v[24:25]
	buffer_store_dword v8, off, s[36:39], 0 offset:816 ; 4-byte Folded Spill
	buffer_store_dword v9, off, s[36:39], 0 offset:820 ; 4-byte Folded Spill
	v_fma_f64 v[8:9], v[66:67], v[6:7], v[26:27]
	v_fma_f64 v[16:17], v[116:117], v[6:7], v[32:33]
	buffer_store_dword v8, off, s[36:39], 0 offset:768 ; 4-byte Folded Spill
	buffer_store_dword v9, off, s[36:39], 0 offset:772 ; 4-byte Folded Spill
	;; [unrolled: 1-line block ×4, first 2 shown]
	v_fma_f64 v[16:17], v[118:119], v[6:7], v[34:35]
	buffer_store_dword v16, off, s[36:39], 0 offset:608 ; 4-byte Folded Spill
	buffer_store_dword v17, off, s[36:39], 0 offset:612 ; 4-byte Folded Spill
	s_clause 0xf
	buffer_load_dword v4, off, s[36:39], 0 offset:640
	buffer_load_dword v5, off, s[36:39], 0 offset:644
	;; [unrolled: 1-line block ×16, first 2 shown]
	v_mov_b32_e32 v79, v63
	v_mov_b32_e32 v78, v62
	;; [unrolled: 1-line block ×4, first 2 shown]
	s_waitcnt vmcnt(12)
	v_mov_b32_e32 v39, v7
	v_mov_b32_e32 v38, v6
	s_waitcnt vmcnt(10)
	v_fma_f64 v[20:21], v[72:73], v[42:43], 0
	v_fma_f64 v[22:23], v[74:75], v[42:43], 0
	;; [unrolled: 1-line block ×8, first 2 shown]
	v_mov_b32_e32 v37, v5
	v_mov_b32_e32 v36, v4
	;; [unrolled: 1-line block ×6, first 2 shown]
	s_waitcnt vmcnt(0)
	v_mov_b32_e32 v48, v88
	v_mov_b32_e32 v49, v89
	;; [unrolled: 1-line block ×8, first 2 shown]
	v_fma_f64 v[20:21], v[88:89], v[44:45], v[20:21]
	v_fma_f64 v[22:23], v[90:91], v[44:45], v[22:23]
	s_clause 0x3
	buffer_load_dword v88, off, s[36:39], 0 offset:32
	buffer_load_dword v89, off, s[36:39], 0 offset:36
	;; [unrolled: 1-line block ×4, first 2 shown]
	v_fma_f64 v[16:17], v[8:9], v[44:45], v[16:17]
	v_fma_f64 v[18:19], v[10:11], v[44:45], v[18:19]
	;; [unrolled: 1-line block ×4, first 2 shown]
	s_clause 0x3
	buffer_load_dword v4, off, s[36:39], 0 offset:544
	buffer_load_dword v5, off, s[36:39], 0 offset:548
	;; [unrolled: 1-line block ×4, first 2 shown]
	s_waitcnt vmcnt(6)
	v_fma_f64 v[24:25], v[88:89], v[44:45], v[24:25]
	s_waitcnt vmcnt(4)
	v_fma_f64 v[26:27], v[90:91], v[44:45], v[26:27]
	;; [unrolled: 2-line block ×3, first 2 shown]
	v_fma_f64 v[46:47], v[38:39], v[4:5], 0
	v_fma_f64 v[60:61], v[72:73], v[4:5], 0
	;; [unrolled: 1-line block ×7, first 2 shown]
	s_waitcnt vmcnt(0)
	v_fma_f64 v[44:45], v[12:13], v[6:7], v[44:45]
	v_fma_f64 v[46:47], v[14:15], v[6:7], v[46:47]
	;; [unrolled: 1-line block ×8, first 2 shown]
	s_clause 0x13
	buffer_load_dword v56, off, s[36:39], 0 offset:656
	buffer_load_dword v57, off, s[36:39], 0 offset:660
	;; [unrolled: 1-line block ×20, first 2 shown]
	s_waitcnt vmcnt(14)
	v_fma_f64 v[16:17], v[56:57], v[6:7], v[16:17]
	v_fma_f64 v[18:19], v[58:59], v[6:7], v[18:19]
	s_waitcnt vmcnt(10)
	v_fma_f64 v[20:21], v[112:113], v[6:7], v[20:21]
	s_waitcnt vmcnt(8)
	;; [unrolled: 2-line block ×6, first 2 shown]
	v_fma_f64 v[42:43], v[122:123], v[6:7], v[42:43]
	s_clause 0x3
	buffer_load_dword v4, off, s[36:39], 0 offset:64
	buffer_load_dword v5, off, s[36:39], 0 offset:68
	;; [unrolled: 1-line block ×4, first 2 shown]
	s_waitcnt vmcnt(2)
	v_fma_f64 v[16:17], v[4:5], v[8:9], v[16:17]
	s_waitcnt vmcnt(0)
	v_mov_b32_e32 v13, v7
	v_fma_f64 v[18:19], v[6:7], v[8:9], v[18:19]
	v_mov_b32_e32 v12, v6
	v_mov_b32_e32 v11, v5
	;; [unrolled: 1-line block ×3, first 2 shown]
	s_clause 0x3
	buffer_load_dword v4, off, s[36:39], 0
	buffer_load_dword v5, off, s[36:39], 0 offset:4
	buffer_load_dword v6, off, s[36:39], 0 offset:8
	;; [unrolled: 1-line block ×3, first 2 shown]
	s_waitcnt vmcnt(2)
	v_fma_f64 v[20:21], v[4:5], v[8:9], v[20:21]
	s_waitcnt vmcnt(0)
	v_mov_b32_e32 v39, v7
	v_fma_f64 v[22:23], v[6:7], v[8:9], v[22:23]
	v_mov_b32_e32 v38, v6
	v_mov_b32_e32 v37, v5
	;; [unrolled: 1-line block ×3, first 2 shown]
	s_clause 0x7
	buffer_load_dword v4, off, s[36:39], 0 offset:160
	buffer_load_dword v5, off, s[36:39], 0 offset:164
	;; [unrolled: 1-line block ×8, first 2 shown]
	s_waitcnt vmcnt(6)
	v_fma_f64 v[24:25], v[4:5], v[8:9], v[24:25]
	s_waitcnt vmcnt(2)
	v_fma_f64 v[34:35], v[92:93], v[8:9], v[34:35]
	v_mov_b32_e32 v31, v7
	v_fma_f64 v[26:27], v[6:7], v[8:9], v[26:27]
	v_mov_b32_e32 v30, v6
	v_mov_b32_e32 v29, v5
	;; [unrolled: 1-line block ×3, first 2 shown]
	s_clause 0x3
	buffer_load_dword v4, off, s[36:39], 0 offset:528
	buffer_load_dword v5, off, s[36:39], 0 offset:532
	;; [unrolled: 1-line block ×4, first 2 shown]
	s_waitcnt vmcnt(4)
	v_fma_f64 v[42:43], v[94:95], v[8:9], v[42:43]
	s_waitcnt vmcnt(2)
	v_fma_f64 v[44:45], v[56:57], v[4:5], v[44:45]
	v_fma_f64 v[46:47], v[58:59], v[4:5], v[46:47]
	v_fma_f64 v[60:61], v[112:113], v[4:5], v[60:61]
	v_fma_f64 v[62:63], v[114:115], v[4:5], v[62:63]
	v_fma_f64 v[66:67], v[124:125], v[4:5], v[66:67]
	v_fma_f64 v[80:81], v[126:127], v[4:5], v[80:81]
	v_fma_f64 v[82:83], v[120:121], v[4:5], v[82:83]
	v_fma_f64 v[84:85], v[122:123], v[4:5], v[84:85]
	s_waitcnt vmcnt(0)
	v_fma_f64 v[44:45], v[10:11], v[6:7], v[44:45]
	v_fma_f64 v[46:47], v[12:13], v[6:7], v[46:47]
	;; [unrolled: 1-line block ×8, first 2 shown]
	s_clause 0x17
	buffer_load_dword v4, off, s[36:39], 0 offset:512
	buffer_load_dword v5, off, s[36:39], 0 offset:516
	;; [unrolled: 1-line block ×24, first 2 shown]
	s_waitcnt vmcnt(18)
	v_fma_f64 v[16:17], v[12:13], v[4:5], v[16:17]
	s_waitcnt vmcnt(14)
	v_fma_f64 v[20:21], v[48:49], v[4:5], v[20:21]
	v_fma_f64 v[18:19], v[14:15], v[4:5], v[18:19]
	s_waitcnt vmcnt(12)
	v_fma_f64 v[22:23], v[50:51], v[4:5], v[22:23]
	s_waitcnt vmcnt(10)
	;; [unrolled: 2-line block ×4, first 2 shown]
	v_mov_b32_e32 v31, v11
	v_mov_b32_e32 v30, v10
	;; [unrolled: 1-line block ×4, first 2 shown]
	v_fma_f64 v[34:35], v[56:57], v[4:5], v[34:35]
	v_fma_f64 v[42:43], v[58:59], v[4:5], v[42:43]
	;; [unrolled: 1-line block ×4, first 2 shown]
	s_clause 0x3
	buffer_load_dword v8, off, s[36:39], 0 offset:352
	buffer_load_dword v9, off, s[36:39], 0 offset:356
	;; [unrolled: 1-line block ×4, first 2 shown]
	s_waitcnt vmcnt(2)
	v_fma_f64 v[20:21], v[8:9], v[6:7], v[20:21]
	s_waitcnt vmcnt(0)
	v_mov_b32_e32 v75, v11
	v_fma_f64 v[22:23], v[10:11], v[6:7], v[22:23]
	v_mov_b32_e32 v74, v10
	v_mov_b32_e32 v73, v9
	;; [unrolled: 1-line block ×3, first 2 shown]
	s_clause 0x3
	buffer_load_dword v8, off, s[36:39], 0 offset:1008
	buffer_load_dword v9, off, s[36:39], 0 offset:1012
	;; [unrolled: 1-line block ×4, first 2 shown]
	v_fma_f64 v[20:21], v[68:69], v[100:101], v[20:21]
	s_waitcnt vmcnt(2)
	v_fma_f64 v[24:25], v[8:9], v[6:7], v[24:25]
	s_waitcnt vmcnt(0)
	v_mov_b32_e32 v55, v11
	v_fma_f64 v[26:27], v[10:11], v[6:7], v[26:27]
	v_mov_b32_e32 v54, v10
	v_mov_b32_e32 v53, v9
	;; [unrolled: 1-line block ×3, first 2 shown]
	s_clause 0x3
	buffer_load_dword v8, off, s[36:39], 0 offset:320
	buffer_load_dword v9, off, s[36:39], 0 offset:324
	;; [unrolled: 1-line block ×4, first 2 shown]
	v_fma_f64 v[24:25], v[104:105], v[100:101], v[24:25]
	v_fma_f64 v[26:27], v[106:107], v[100:101], v[26:27]
	s_waitcnt vmcnt(2)
	v_fma_f64 v[34:35], v[8:9], v[6:7], v[34:35]
	s_waitcnt vmcnt(0)
	v_fma_f64 v[42:43], v[10:11], v[6:7], v[42:43]
	s_clause 0x3
	buffer_load_dword v4, off, s[36:39], 0 offset:496
	buffer_load_dword v5, off, s[36:39], 0 offset:500
	;; [unrolled: 1-line block ×4, first 2 shown]
	v_mov_b32_e32 v39, v11
	v_mov_b32_e32 v38, v10
	;; [unrolled: 1-line block ×8, first 2 shown]
	v_fma_f64 v[34:35], v[108:109], v[100:101], v[34:35]
	v_fma_f64 v[42:43], v[110:111], v[100:101], v[42:43]
	s_waitcnt vmcnt(2)
	v_fma_f64 v[46:47], v[14:15], v[4:5], v[46:47]
	v_fma_f64 v[60:61], v[48:49], v[4:5], v[60:61]
	;; [unrolled: 1-line block ×9, first 2 shown]
	v_mov_b32_e32 v56, v96
	v_mov_b32_e32 v57, v97
	v_mov_b32_e32 v58, v98
	v_mov_b32_e32 v59, v99
	s_waitcnt vmcnt(0)
	v_fma_f64 v[46:47], v[30:31], v[6:7], v[46:47]
	v_fma_f64 v[60:61], v[72:73], v[6:7], v[60:61]
	v_fma_f64 v[62:63], v[74:75], v[6:7], v[62:63]
	v_fma_f64 v[30:31], v[52:53], v[6:7], v[66:67]
	v_fma_f64 v[80:81], v[54:55], v[6:7], v[80:81]
	s_clause 0xb
	buffer_load_dword v72, off, s[36:39], 0 offset:144
	buffer_load_dword v73, off, s[36:39], 0 offset:148
	;; [unrolled: 1-line block ×12, first 2 shown]
	v_fma_f64 v[28:29], v[28:29], v[6:7], v[44:45]
	v_fma_f64 v[44:45], v[70:71], v[100:101], v[22:23]
	;; [unrolled: 1-line block ×7, first 2 shown]
	s_waitcnt vmcnt(10)
	v_fma_f64 v[16:17], v[72:73], v[100:101], v[16:17]
	s_waitcnt vmcnt(8)
	v_fma_f64 v[18:19], v[74:75], v[100:101], v[18:19]
	;; [unrolled: 2-line block ×4, first 2 shown]
	buffer_store_dword v4, off, s[36:39], 0 offset:1160 ; 4-byte Folded Spill
	buffer_store_dword v5, off, s[36:39], 0 offset:1164 ; 4-byte Folded Spill
	v_fma_f64 v[22:23], v[52:53], v[102:103], v[16:17]
	v_fma_f64 v[38:39], v[54:55], v[102:103], v[18:19]
	s_clause 0x3
	buffer_load_dword v16, off, s[36:39], 0 offset:240
	buffer_load_dword v17, off, s[36:39], 0 offset:244
	buffer_load_dword v18, off, s[36:39], 0 offset:248
	buffer_load_dword v19, off, s[36:39], 0 offset:252
	v_fma_f64 v[20:21], v[72:73], v[0:1], v[28:29]
	v_fma_f64 v[28:29], v[70:71], v[0:1], v[62:63]
	s_waitcnt vmcnt(2)
	v_fma_f64 v[4:5], v[16:17], v[102:103], v[24:25]
	buffer_store_dword v4, off, s[36:39], 0 offset:912 ; 4-byte Folded Spill
	buffer_store_dword v5, off, s[36:39], 0 offset:916 ; 4-byte Folded Spill
	s_waitcnt vmcnt(0)
	v_fma_f64 v[4:5], v[18:19], v[102:103], v[26:27]
	buffer_store_dword v4, off, s[36:39], 0 offset:560 ; 4-byte Folded Spill
	buffer_store_dword v5, off, s[36:39], 0 offset:564 ; 4-byte Folded Spill
	v_mov_b32_e32 v4, v48
	v_fma_f64 v[26:27], v[68:69], v[0:1], v[60:61]
	v_mov_b32_e32 v6, v50
	v_mov_b32_e32 v7, v51
	buffer_store_dword v8, off, s[36:39], 0 offset:512 ; 4-byte Folded Spill
	buffer_store_dword v9, off, s[36:39], 0 offset:516 ; 4-byte Folded Spill
	v_fma_f64 v[8:9], v[118:119], v[102:103], v[42:43]
	v_fma_f64 v[24:25], v[74:75], v[0:1], v[46:47]
	;; [unrolled: 1-line block ×4, first 2 shown]
	v_mov_b32_e32 v5, v49
	buffer_store_dword v8, off, s[36:39], 0 offset:272 ; 4-byte Folded Spill
	buffer_store_dword v9, off, s[36:39], 0 offset:276 ; 4-byte Folded Spill
	v_fma_f64 v[26:27], v[4:5], v[2:3], v[26:27]
	v_mov_b32_e32 v4, v16
	v_mov_b32_e32 v5, v17
	buffer_store_dword v0, off, s[36:39], 0 offset:576 ; 4-byte Folded Spill
	buffer_store_dword v1, off, s[36:39], 0 offset:580 ; 4-byte Folded Spill
	v_mov_b32_e32 v6, v18
	v_mov_b32_e32 v7, v19
	;; [unrolled: 1-line block ×3, first 2 shown]
	v_fma_f64 v[0:1], v[4:5], v[2:3], v[30:31]
	buffer_store_dword v0, off, s[36:39], 0 offset:544 ; 4-byte Folded Spill
	buffer_store_dword v1, off, s[36:39], 0 offset:548 ; 4-byte Folded Spill
	v_fma_f64 v[0:1], v[6:7], v[2:3], v[42:43]
	buffer_store_dword v0, off, s[36:39], 0 offset:1416 ; 4-byte Folded Spill
	buffer_store_dword v1, off, s[36:39], 0 offset:1420 ; 4-byte Folded Spill
	;; [unrolled: 3-line block ×3, first 2 shown]
	v_fma_f64 v[0:1], v[118:119], v[2:3], v[36:37]
	v_mov_b32_e32 v70, v54
	v_mov_b32_e32 v69, v53
	;; [unrolled: 1-line block ×4, first 2 shown]
	buffer_store_dword v0, off, s[36:39], 0 offset:496 ; 4-byte Folded Spill
	buffer_store_dword v1, off, s[36:39], 0 offset:500 ; 4-byte Folded Spill
	v_mov_b32_e32 v101, v105
	v_mov_b32_e32 v102, v106
	;; [unrolled: 1-line block ×3, first 2 shown]
	v_fma_f64 v[54:55], v[68:69], v[2:3], v[20:21]
	v_fma_f64 v[24:25], v[70:71], v[2:3], v[24:25]
	s_clause 0x9
	buffer_load_dword v68, off, s[36:39], 0 offset:640
	buffer_load_dword v69, off, s[36:39], 0 offset:644
	;; [unrolled: 1-line block ×10, first 2 shown]
	v_mov_b32_e32 v4, v96
	v_mov_b32_e32 v5, v97
	;; [unrolled: 1-line block ×8, first 2 shown]
	s_waitcnt vmcnt(2)
	v_fma_f64 v[32:33], v[104:105], v[2:3], 0
	s_waitcnt vmcnt(0)
	v_mov_b32_e32 v72, v104
	v_fma_f64 v[36:37], v[106:107], v[2:3], 0
	v_mov_b32_e32 v73, v105
	v_mov_b32_e32 v74, v106
	;; [unrolled: 1-line block ×3, first 2 shown]
	s_clause 0x9
	buffer_load_dword v104, off, s[36:39], 0 offset:304
	buffer_load_dword v105, off, s[36:39], 0 offset:308
	;; [unrolled: 1-line block ×10, first 2 shown]
	v_fma_f64 v[0:1], v[76:77], v[2:3], 0
	s_clause 0x3
	buffer_load_dword v60, off, s[36:39], 0 offset:704
	buffer_load_dword v61, off, s[36:39], 0 offset:708
	;; [unrolled: 1-line block ×4, first 2 shown]
	v_fma_f64 v[28:29], v[68:69], v[2:3], 0
	v_fma_f64 v[30:31], v[70:71], v[2:3], 0
	s_waitcnt vmcnt(8)
	v_fma_f64 v[34:35], v[4:5], v[8:9], v[0:1]
	s_clause 0x1
	buffer_load_dword v0, off, s[36:39], 0 offset:1304
	buffer_load_dword v1, off, s[36:39], 0 offset:1308
	v_fma_f64 v[18:19], v[104:105], v[2:3], 0
	v_fma_f64 v[16:17], v[106:107], v[2:3], 0
	s_waitcnt vmcnt(8)
	v_fma_f64 v[44:45], v[48:49], v[8:9], v[28:29]
	s_waitcnt vmcnt(6)
	;; [unrolled: 2-line block ×4, first 2 shown]
	v_fma_f64 v[10:11], v[62:63], v[8:9], v[36:37]
	v_fma_f64 v[2:3], v[78:79], v[2:3], 0
	v_mov_b32_e32 v76, v124
	v_mov_b32_e32 v77, v125
	;; [unrolled: 1-line block ×4, first 2 shown]
	v_fma_f64 v[12:13], v[88:89], v[8:9], v[18:19]
	v_fma_f64 v[20:21], v[90:91], v[8:9], v[16:17]
	;; [unrolled: 1-line block ×3, first 2 shown]
	s_waitcnt vmcnt(0)
	v_fma_f64 v[16:17], v[68:69], v[0:1], 0
	v_fma_f64 v[18:19], v[70:71], v[0:1], 0
	;; [unrolled: 1-line block ×8, first 2 shown]
	s_clause 0x3
	buffer_load_dword v0, off, s[36:39], 0 offset:1184
	buffer_load_dword v1, off, s[36:39], 0 offset:1188
	;; [unrolled: 1-line block ×4, first 2 shown]
	s_waitcnt vmcnt(2)
	v_fma_f64 v[16:17], v[48:49], v[0:1], v[16:17]
	v_fma_f64 v[18:19], v[50:51], v[0:1], v[18:19]
	;; [unrolled: 1-line block ×8, first 2 shown]
	s_waitcnt vmcnt(0)
	v_fma_f64 v[110:111], v[68:69], v[14:15], 0
	v_fma_f64 v[118:119], v[70:71], v[14:15], 0
	v_fma_f64 v[8:9], v[72:73], v[14:15], 0
	v_fma_f64 v[6:7], v[74:75], v[14:15], 0
	v_fma_f64 v[4:5], v[104:105], v[14:15], 0
	v_fma_f64 v[2:3], v[106:107], v[14:15], 0
	v_fma_f64 v[0:1], v[80:81], v[14:15], 0
	v_fma_f64 v[96:97], v[82:83], v[14:15], 0
	s_clause 0x1
	buffer_load_dword v14, off, s[36:39], 0 offset:1168
	buffer_load_dword v15, off, s[36:39], 0 offset:1172
	s_waitcnt vmcnt(0)
	v_fma_f64 v[8:9], v[60:61], v[14:15], v[8:9]
	s_clause 0x5
	buffer_load_dword v84, off, s[36:39], 0 offset:656
	buffer_load_dword v85, off, s[36:39], 0 offset:660
	;; [unrolled: 1-line block ×6, first 2 shown]
	v_fma_f64 v[0:1], v[56:57], v[14:15], v[0:1]
	v_fma_f64 v[96:97], v[58:59], v[14:15], v[96:97]
	v_mov_b32_e32 v56, v112
	v_mov_b32_e32 v57, v113
	v_fma_f64 v[110:111], v[48:49], v[14:15], v[110:111]
	v_fma_f64 v[118:119], v[50:51], v[14:15], v[118:119]
	v_mov_b32_e32 v58, v114
	v_mov_b32_e32 v59, v115
	v_fma_f64 v[6:7], v[62:63], v[14:15], v[6:7]
	v_fma_f64 v[4:5], v[88:89], v[14:15], v[4:5]
	;; [unrolled: 1-line block ×3, first 2 shown]
	s_waitcnt vmcnt(0)
	v_fma_f64 v[48:49], v[56:57], v[60:61], v[52:53]
	v_mov_b32_e32 v50, v120
	v_mov_b32_e32 v51, v121
	;; [unrolled: 1-line block ×4, first 2 shown]
	v_fma_f64 v[44:45], v[84:85], v[60:61], v[44:45]
	v_fma_f64 v[46:47], v[86:87], v[60:61], v[46:47]
	;; [unrolled: 1-line block ×7, first 2 shown]
	s_clause 0x3
	buffer_load_dword v20, off, s[36:39], 0 offset:1288
	buffer_load_dword v21, off, s[36:39], 0 offset:1292
	;; [unrolled: 1-line block ×4, first 2 shown]
	s_waitcnt vmcnt(2)
	v_fma_f64 v[16:17], v[84:85], v[20:21], v[16:17]
	v_fma_f64 v[18:19], v[86:87], v[20:21], v[18:19]
	;; [unrolled: 1-line block ×8, first 2 shown]
	s_waitcnt vmcnt(0)
	v_fma_f64 v[110:111], v[84:85], v[60:61], v[110:111]
	v_fma_f64 v[112:113], v[86:87], v[60:61], v[118:119]
	;; [unrolled: 1-line block ×8, first 2 shown]
	s_clause 0xd
	buffer_load_dword v0, off, s[36:39], 0 offset:64
	buffer_load_dword v1, off, s[36:39], 0 offset:68
	buffer_load_dword v2, off, s[36:39], 0 offset:72
	buffer_load_dword v3, off, s[36:39], 0 offset:76
	buffer_load_dword v60, off, s[36:39], 0 offset:1216
	buffer_load_dword v61, off, s[36:39], 0 offset:1220
	buffer_load_dword v50, off, s[36:39], 0
	buffer_load_dword v51, off, s[36:39], 0 offset:4
	buffer_load_dword v52, off, s[36:39], 0 offset:8
	;; [unrolled: 1-line block ×7, first 2 shown]
	v_mov_b32_e32 v56, v92
	v_mov_b32_e32 v57, v93
	;; [unrolled: 1-line block ×4, first 2 shown]
	s_waitcnt vmcnt(8)
	v_fma_f64 v[44:45], v[0:1], v[60:61], v[44:45]
	v_fma_f64 v[46:47], v[2:3], v[60:61], v[46:47]
	s_waitcnt vmcnt(6)
	v_fma_f64 v[48:49], v[50:51], v[60:61], v[48:49]
	s_waitcnt vmcnt(4)
	;; [unrolled: 2-line block ×4, first 2 shown]
	v_fma_f64 v[14:15], v[78:79], v[60:61], v[14:15]
	v_fma_f64 v[34:35], v[56:57], v[60:61], v[34:35]
	;; [unrolled: 1-line block ×3, first 2 shown]
	s_clause 0x1
	buffer_load_dword v60, off, s[36:39], 0 offset:1200
	buffer_load_dword v61, off, s[36:39], 0 offset:1204
	s_waitcnt vmcnt(0)
	v_fma_f64 v[16:17], v[0:1], v[60:61], v[16:17]
	v_fma_f64 v[18:19], v[2:3], v[60:61], v[18:19]
	;; [unrolled: 1-line block ×8, first 2 shown]
	s_clause 0x1
	buffer_load_dword v60, off, s[36:39], 0 offset:1192
	buffer_load_dword v61, off, s[36:39], 0 offset:1196
	s_waitcnt vmcnt(0)
	v_fma_f64 v[96:97], v[0:1], v[60:61], v[110:111]
	v_fma_f64 v[106:107], v[2:3], v[60:61], v[112:113]
	;; [unrolled: 1-line block ×8, first 2 shown]
	s_clause 0x11
	buffer_load_dword v58, off, s[36:39], 0 offset:224
	buffer_load_dword v59, off, s[36:39], 0 offset:228
	;; [unrolled: 1-line block ×18, first 2 shown]
	s_waitcnt vmcnt(12)
	v_fma_f64 v[44:45], v[58:59], v[20:21], v[44:45]
	v_fma_f64 v[46:47], v[60:61], v[20:21], v[46:47]
	s_waitcnt vmcnt(10)
	v_fma_f64 v[48:49], v[108:109], v[20:21], v[48:49]
	s_waitcnt vmcnt(8)
	;; [unrolled: 2-line block ×6, first 2 shown]
	v_fma_f64 v[42:43], v[78:79], v[20:21], v[42:43]
	s_clause 0x1
	buffer_load_dword v20, off, s[36:39], 0 offset:1344
	buffer_load_dword v21, off, s[36:39], 0 offset:1348
	s_waitcnt vmcnt(0)
	v_fma_f64 v[16:17], v[58:59], v[20:21], v[16:17]
	v_fma_f64 v[18:19], v[60:61], v[20:21], v[18:19]
	v_fma_f64 v[28:29], v[108:109], v[20:21], v[28:29]
	v_fma_f64 v[30:31], v[110:111], v[20:21], v[30:31]
	v_fma_f64 v[32:33], v[112:113], v[20:21], v[32:33]
	v_fma_f64 v[36:37], v[114:115], v[20:21], v[36:37]
	v_fma_f64 v[52:53], v[76:77], v[20:21], v[94:95]
	v_fma_f64 v[56:57], v[78:79], v[20:21], v[88:89]
	s_clause 0x1
	buffer_load_dword v20, off, s[36:39], 0 offset:1336
	buffer_load_dword v21, off, s[36:39], 0 offset:1340
	s_waitcnt vmcnt(0)
	v_fma_f64 v[88:89], v[58:59], v[20:21], v[96:97]
	v_fma_f64 v[90:91], v[60:61], v[20:21], v[106:107]
	;; [unrolled: 1-line block ×8, first 2 shown]
	s_clause 0x11
	buffer_load_dword v76, off, s[36:39], 0 offset:688
	buffer_load_dword v77, off, s[36:39], 0 offset:692
	;; [unrolled: 1-line block ×18, first 2 shown]
	s_waitcnt vmcnt(14)
	v_mov_b32_e32 v125, v79
	v_mov_b32_e32 v124, v78
	s_waitcnt vmcnt(12)
	v_fma_f64 v[44:45], v[76:77], v[20:21], v[44:45]
	v_fma_f64 v[46:47], v[78:79], v[20:21], v[46:47]
	s_waitcnt vmcnt(10)
	v_fma_f64 v[48:49], v[58:59], v[20:21], v[48:49]
	s_waitcnt vmcnt(8)
	v_fma_f64 v[10:11], v[60:61], v[20:21], v[10:11]
	s_waitcnt vmcnt(6)
	v_fma_f64 v[12:13], v[118:119], v[20:21], v[12:13]
	s_waitcnt vmcnt(4)
	v_fma_f64 v[14:15], v[120:121], v[20:21], v[14:15]
	s_waitcnt vmcnt(2)
	v_fma_f64 v[34:35], v[92:93], v[20:21], v[34:35]
	s_waitcnt vmcnt(0)
	v_fma_f64 v[42:43], v[94:95], v[20:21], v[42:43]
	s_clause 0x1
	buffer_load_dword v20, off, s[36:39], 0 offset:1328
	buffer_load_dword v21, off, s[36:39], 0 offset:1332
	v_mov_b32_e32 v107, v95
	v_mov_b32_e32 v106, v94
	;; [unrolled: 1-line block ×6, first 2 shown]
	v_fma_f64 v[12:13], v[100:101], v[22:23], v[12:13]
	v_fma_f64 v[14:15], v[102:103], v[22:23], v[14:15]
	s_waitcnt vmcnt(0)
	v_fma_f64 v[16:17], v[76:77], v[20:21], v[16:17]
	v_fma_f64 v[18:19], v[78:79], v[20:21], v[18:19]
	;; [unrolled: 1-line block ×8, first 2 shown]
	s_clause 0x5
	buffer_load_dword v20, off, s[36:39], 0 offset:1320
	buffer_load_dword v21, off, s[36:39], 0 offset:1324
	;; [unrolled: 1-line block ×6, first 2 shown]
	v_fma_f64 v[32:33], v[100:101], v[38:39], v[32:33]
	v_fma_f64 v[36:37], v[102:103], v[38:39], v[36:37]
	s_waitcnt vmcnt(2)
	v_fma_f64 v[44:45], v[62:63], v[22:23], v[44:45]
	v_fma_f64 v[8:9], v[58:59], v[20:21], v[8:9]
	;; [unrolled: 1-line block ×5, first 2 shown]
	s_clause 0x7
	buffer_load_dword v92, off, s[36:39], 0 offset:1024
	buffer_load_dword v93, off, s[36:39], 0 offset:1028
	;; [unrolled: 1-line block ×8, first 2 shown]
	v_fma_f64 v[88:89], v[76:77], v[20:21], v[88:89]
	v_fma_f64 v[90:91], v[78:79], v[20:21], v[90:91]
	;; [unrolled: 1-line block ×4, first 2 shown]
	s_waitcnt vmcnt(8)
	v_fma_f64 v[46:47], v[64:65], v[22:23], v[46:47]
	v_fma_f64 v[16:17], v[62:63], v[38:39], v[16:17]
	;; [unrolled: 1-line block ×5, first 2 shown]
	s_waitcnt vmcnt(6)
	v_fma_f64 v[48:49], v[92:93], v[22:23], v[48:49]
	s_waitcnt vmcnt(2)
	v_fma_f64 v[34:35], v[58:59], v[22:23], v[34:35]
	v_fma_f64 v[10:11], v[94:95], v[22:23], v[10:11]
	s_waitcnt vmcnt(0)
	v_fma_f64 v[22:23], v[60:61], v[22:23], v[42:43]
	v_fma_f64 v[28:29], v[92:93], v[38:39], v[28:29]
	;; [unrolled: 1-line block ×11, first 2 shown]
	s_clause 0x3
	buffer_load_dword v58, off, s[36:39], 0 offset:336
	buffer_load_dword v59, off, s[36:39], 0 offset:340
	;; [unrolled: 1-line block ×4, first 2 shown]
	s_waitcnt vmcnt(2)
	v_fma_f64 v[20:21], v[58:59], v[54:55], v[44:45]
	buffer_store_dword v20, off, s[36:39], 0 offset:1384 ; 4-byte Folded Spill
	buffer_store_dword v21, off, s[36:39], 0 offset:1388 ; 4-byte Folded Spill
	s_waitcnt vmcnt(0)
	v_fma_f64 v[20:21], v[60:61], v[54:55], v[46:47]
	buffer_store_dword v20, off, s[36:39], 0 offset:1352 ; 4-byte Folded Spill
	buffer_store_dword v21, off, s[36:39], 0 offset:1356 ; 4-byte Folded Spill
	s_clause 0x3
	buffer_load_dword v62, off, s[36:39], 0 offset:112
	buffer_load_dword v63, off, s[36:39], 0 offset:116
	;; [unrolled: 1-line block ×4, first 2 shown]
	s_waitcnt vmcnt(2)
	v_fma_f64 v[20:21], v[62:63], v[54:55], v[48:49]
	buffer_store_dword v20, off, s[36:39], 0 offset:1320 ; 4-byte Folded Spill
	buffer_store_dword v21, off, s[36:39], 0 offset:1324 ; 4-byte Folded Spill
	s_waitcnt vmcnt(0)
	v_fma_f64 v[10:11], v[64:65], v[54:55], v[10:11]
	buffer_store_dword v10, off, s[36:39], 0 offset:1296 ; 4-byte Folded Spill
	buffer_store_dword v11, off, s[36:39], 0 offset:1300 ; 4-byte Folded Spill
	s_clause 0x3
	buffer_load_dword v44, off, s[36:39], 0 offset:240
	buffer_load_dword v45, off, s[36:39], 0 offset:244
	;; [unrolled: 1-line block ×4, first 2 shown]
	v_fma_f64 v[8:9], v[62:63], v[26:27], v[8:9]
	v_fma_f64 v[6:7], v[64:65], v[26:27], v[6:7]
	s_waitcnt vmcnt(2)
	v_fma_f64 v[10:11], v[44:45], v[54:55], v[12:13]
	buffer_store_dword v10, off, s[36:39], 0 offset:1208 ; 4-byte Folded Spill
	buffer_store_dword v11, off, s[36:39], 0 offset:1212 ; 4-byte Folded Spill
	s_waitcnt vmcnt(0)
	v_fma_f64 v[10:11], v[46:47], v[54:55], v[14:15]
	buffer_store_dword v10, off, s[36:39], 0 offset:1184 ; 4-byte Folded Spill
	buffer_store_dword v11, off, s[36:39], 0 offset:1188 ; 4-byte Folded Spill
	s_clause 0x3
	buffer_load_dword v12, off, s[36:39], 0 offset:368
	buffer_load_dword v13, off, s[36:39], 0 offset:372
	buffer_load_dword v14, off, s[36:39], 0 offset:376
	buffer_load_dword v15, off, s[36:39], 0 offset:380
	v_fma_f64 v[4:5], v[44:45], v[26:27], v[4:5]
	v_fma_f64 v[2:3], v[46:47], v[26:27], v[2:3]
	s_waitcnt vmcnt(2)
	v_fma_f64 v[10:11], v[12:13], v[54:55], v[34:35]
	buffer_store_dword v10, off, s[36:39], 0 offset:1168 ; 4-byte Folded Spill
	buffer_store_dword v11, off, s[36:39], 0 offset:1172 ; 4-byte Folded Spill
	s_waitcnt vmcnt(0)
	v_fma_f64 v[10:11], v[14:15], v[54:55], v[22:23]
	buffer_store_dword v10, off, s[36:39], 0 offset:896 ; 4-byte Folded Spill
	buffer_store_dword v11, off, s[36:39], 0 offset:900 ; 4-byte Folded Spill
	v_fma_f64 v[10:11], v[58:59], v[24:25], v[16:17]
	buffer_store_dword v10, off, s[36:39], 0 offset:1400 ; 4-byte Folded Spill
	buffer_store_dword v11, off, s[36:39], 0 offset:1404 ; 4-byte Folded Spill
	;; [unrolled: 3-line block ×10, first 2 shown]
	v_fma_f64 v[10:11], v[60:61], v[26:27], v[56:57]
	v_fma_f64 v[0:1], v[12:13], v[26:27], v[0:1]
	buffer_store_dword v10, off, s[36:39], 0 offset:1392 ; 4-byte Folded Spill
	buffer_store_dword v11, off, s[36:39], 0 offset:1396 ; 4-byte Folded Spill
	;; [unrolled: 1-line block ×12, first 2 shown]
	v_fma_f64 v[0:1], v[14:15], v[26:27], v[40:41]
	buffer_store_dword v0, off, s[36:39], 0 offset:1200 ; 4-byte Folded Spill
	buffer_store_dword v1, off, s[36:39], 0 offset:1204 ; 4-byte Folded Spill
	s_clause 0x2d
	buffer_load_dword v14, off, s[36:39], 0 offset:1152
	buffer_load_dword v15, off, s[36:39], 0 offset:1156
	;; [unrolled: 1-line block ×46, first 2 shown]
	s_waitcnt vmcnt(44)
	v_fma_f64 v[0:1], v[68:69], v[14:15], 0
	v_fma_f64 v[2:3], v[70:71], v[14:15], 0
	;; [unrolled: 1-line block ×4, first 2 shown]
	s_waitcnt vmcnt(42)
	v_fma_f64 v[8:9], v[60:61], v[14:15], 0
	s_waitcnt vmcnt(40)
	v_fma_f64 v[10:11], v[62:63], v[14:15], 0
	v_fma_f64 v[12:13], v[80:81], v[14:15], 0
	;; [unrolled: 1-line block ×3, first 2 shown]
	s_waitcnt vmcnt(20)
	v_fma_f64 v[18:19], v[70:71], v[30:31], 0
	v_fma_f64 v[20:21], v[72:73], v[30:31], 0
	v_fma_f64 v[22:23], v[74:75], v[30:31], 0
	v_fma_f64 v[24:25], v[60:61], v[30:31], 0
	v_fma_f64 v[26:27], v[62:63], v[30:31], 0
	v_fma_f64 v[28:29], v[80:81], v[30:31], 0
	s_waitcnt vmcnt(16)
	v_fma_f64 v[34:35], v[70:71], v[46:47], 0
	v_fma_f64 v[36:37], v[72:73], v[46:47], 0
	;; [unrolled: 1-line block ×22, first 2 shown]
	s_waitcnt vmcnt(14)
	v_fma_f64 v[34:35], v[102:103], v[48:49], v[34:35]
	v_fma_f64 v[36:37], v[76:77], v[48:49], v[36:37]
	;; [unrolled: 1-line block ×6, first 2 shown]
	s_waitcnt vmcnt(8)
	v_fma_f64 v[0:1], v[52:53], v[64:65], v[0:1]
	v_fma_f64 v[2:3], v[54:55], v[64:65], v[2:3]
	s_waitcnt vmcnt(6)
	v_fma_f64 v[4:5], v[84:85], v[64:65], v[4:5]
	s_waitcnt vmcnt(4)
	;; [unrolled: 2-line block ×4, first 2 shown]
	v_fma_f64 v[10:11], v[58:59], v[64:65], v[10:11]
	v_fma_f64 v[16:17], v[100:101], v[32:33], v[16:17]
	;; [unrolled: 1-line block ×7, first 2 shown]
	s_clause 0x3
	buffer_load_dword v48, off, s[36:39], 0 offset:192
	buffer_load_dword v49, off, s[36:39], 0 offset:196
	;; [unrolled: 1-line block ×4, first 2 shown]
	s_waitcnt vmcnt(2)
	v_fma_f64 v[12:13], v[48:49], v[64:65], v[12:13]
	s_waitcnt vmcnt(0)
	v_fma_f64 v[14:15], v[50:51], v[64:65], v[14:15]
	s_clause 0x1
	buffer_load_dword v64, off, s[36:39], 0 offset:1104
	buffer_load_dword v65, off, s[36:39], 0 offset:1108
	s_waitcnt vmcnt(0)
	v_fma_f64 v[16:17], v[52:53], v[64:65], v[16:17]
	v_fma_f64 v[18:19], v[54:55], v[64:65], v[18:19]
	;; [unrolled: 1-line block ×8, first 2 shown]
	s_clause 0x1
	buffer_load_dword v64, off, s[36:39], 0 offset:992
	buffer_load_dword v65, off, s[36:39], 0 offset:996
	s_waitcnt vmcnt(0)
	v_fma_f64 v[32:33], v[52:53], v[64:65], v[32:33]
	v_fma_f64 v[34:35], v[54:55], v[64:65], v[34:35]
	;; [unrolled: 1-line block ×8, first 2 shown]
	s_clause 0x11
	buffer_load_dword v50, off, s[36:39], 0 offset:64
	buffer_load_dword v51, off, s[36:39], 0 offset:68
	;; [unrolled: 1-line block ×6, first 2 shown]
	buffer_load_dword v84, off, s[36:39], 0
	buffer_load_dword v85, off, s[36:39], 0 offset:4
	buffer_load_dword v86, off, s[36:39], 0 offset:8
	;; [unrolled: 1-line block ×11, first 2 shown]
	s_waitcnt vmcnt(12)
	v_fma_f64 v[0:1], v[50:51], v[48:49], v[0:1]
	v_fma_f64 v[2:3], v[52:53], v[48:49], v[2:3]
	s_waitcnt vmcnt(10)
	v_fma_f64 v[4:5], v[84:85], v[48:49], v[4:5]
	s_waitcnt vmcnt(8)
	;; [unrolled: 2-line block ×6, first 2 shown]
	v_fma_f64 v[14:15], v[56:57], v[48:49], v[14:15]
	s_clause 0x1
	buffer_load_dword v48, off, s[36:39], 0 offset:880
	buffer_load_dword v49, off, s[36:39], 0 offset:884
	s_waitcnt vmcnt(0)
	v_fma_f64 v[16:17], v[50:51], v[48:49], v[16:17]
	v_fma_f64 v[18:19], v[52:53], v[48:49], v[18:19]
	;; [unrolled: 1-line block ×8, first 2 shown]
	s_clause 0x1
	buffer_load_dword v48, off, s[36:39], 0 offset:864
	buffer_load_dword v49, off, s[36:39], 0 offset:868
	s_waitcnt vmcnt(0)
	v_fma_f64 v[32:33], v[50:51], v[48:49], v[32:33]
	v_fma_f64 v[34:35], v[52:53], v[48:49], v[34:35]
	v_fma_f64 v[36:37], v[84:85], v[48:49], v[36:37]
	v_fma_f64 v[38:39], v[86:87], v[48:49], v[38:39]
	v_fma_f64 v[40:41], v[64:65], v[48:49], v[40:41]
	v_fma_f64 v[42:43], v[66:67], v[48:49], v[42:43]
	v_fma_f64 v[44:45], v[54:55], v[48:49], v[44:45]
	v_fma_f64 v[46:47], v[56:57], v[48:49], v[46:47]
	s_clause 0x11
	buffer_load_dword v48, off, s[36:39], 0 offset:1144
	buffer_load_dword v49, off, s[36:39], 0 offset:1148
	;; [unrolled: 1-line block ×18, first 2 shown]
	s_waitcnt vmcnt(14)
	v_fma_f64 v[0:1], v[64:65], v[48:49], v[0:1]
	s_waitcnt vmcnt(10)
	v_fma_f64 v[4:5], v[54:55], v[48:49], v[4:5]
	v_fma_f64 v[2:3], v[66:67], v[48:49], v[2:3]
	s_waitcnt vmcnt(8)
	v_fma_f64 v[6:7], v[56:57], v[48:49], v[6:7]
	s_waitcnt vmcnt(6)
	;; [unrolled: 2-line block ×5, first 2 shown]
	v_fma_f64 v[14:15], v[52:53], v[48:49], v[14:15]
	s_clause 0x1
	buffer_load_dword v48, off, s[36:39], 0 offset:1136
	buffer_load_dword v49, off, s[36:39], 0 offset:1140
	s_waitcnt vmcnt(0)
	v_fma_f64 v[16:17], v[64:65], v[48:49], v[16:17]
	v_fma_f64 v[18:19], v[66:67], v[48:49], v[18:19]
	;; [unrolled: 1-line block ×8, first 2 shown]
	s_clause 0x1
	buffer_load_dword v48, off, s[36:39], 0 offset:848
	buffer_load_dword v49, off, s[36:39], 0 offset:852
	s_waitcnt vmcnt(0)
	v_fma_f64 v[32:33], v[64:65], v[48:49], v[32:33]
	v_fma_f64 v[34:35], v[66:67], v[48:49], v[34:35]
	;; [unrolled: 1-line block ×8, first 2 shown]
	s_clause 0x5
	buffer_load_dword v48, off, s[36:39], 0 offset:832
	buffer_load_dword v49, off, s[36:39], 0 offset:836
	;; [unrolled: 1-line block ×6, first 2 shown]
	v_mov_b32_e32 v56, v104
	v_mov_b32_e32 v57, v105
	;; [unrolled: 1-line block ×4, first 2 shown]
	s_waitcnt vmcnt(4)
	v_fma_f64 v[0:1], v[122:123], v[48:49], v[0:1]
	v_fma_f64 v[2:3], v[124:125], v[48:49], v[2:3]
	s_waitcnt vmcnt(2)
	v_fma_f64 v[4:5], v[108:109], v[48:49], v[4:5]
	s_waitcnt vmcnt(0)
	v_fma_f64 v[6:7], v[110:111], v[48:49], v[6:7]
	v_fma_f64 v[8:9], v[118:119], v[48:49], v[8:9]
	;; [unrolled: 1-line block ×5, first 2 shown]
	s_clause 0x1
	buffer_load_dword v48, off, s[36:39], 0 offset:816
	buffer_load_dword v49, off, s[36:39], 0 offset:820
	s_waitcnt vmcnt(0)
	v_fma_f64 v[16:17], v[122:123], v[48:49], v[16:17]
	v_fma_f64 v[18:19], v[124:125], v[48:49], v[18:19]
	;; [unrolled: 1-line block ×8, first 2 shown]
	s_clause 0x1
	buffer_load_dword v48, off, s[36:39], 0 offset:768
	buffer_load_dword v49, off, s[36:39], 0 offset:772
	s_waitcnt vmcnt(0)
	v_fma_f64 v[32:33], v[122:123], v[48:49], v[32:33]
	v_fma_f64 v[34:35], v[124:125], v[48:49], v[34:35]
	v_mov_b32_e32 v125, v107
	v_fma_f64 v[36:37], v[108:109], v[48:49], v[36:37]
	v_fma_f64 v[38:39], v[110:111], v[48:49], v[38:39]
	;; [unrolled: 1-line block ×6, first 2 shown]
	v_mov_b32_e32 v124, v106
	v_mov_b32_e32 v123, v105
	;; [unrolled: 1-line block ×3, first 2 shown]
	s_clause 0x11
	buffer_load_dword v48, off, s[36:39], 0 offset:1160
	buffer_load_dword v49, off, s[36:39], 0 offset:1164
	;; [unrolled: 1-line block ×18, first 2 shown]
	s_waitcnt vmcnt(14)
	v_fma_f64 v[0:1], v[88:89], v[48:49], v[0:1]
	s_waitcnt vmcnt(10)
	v_fma_f64 v[4:5], v[84:85], v[48:49], v[4:5]
	v_fma_f64 v[2:3], v[90:91], v[48:49], v[2:3]
	s_waitcnt vmcnt(8)
	v_fma_f64 v[6:7], v[86:87], v[48:49], v[6:7]
	s_waitcnt vmcnt(6)
	;; [unrolled: 2-line block ×5, first 2 shown]
	v_fma_f64 v[54:55], v[106:107], v[48:49], v[14:15]
	s_clause 0x1
	buffer_load_dword v48, off, s[36:39], 0 offset:912
	buffer_load_dword v49, off, s[36:39], 0 offset:916
	s_waitcnt vmcnt(0)
	v_fma_f64 v[50:51], v[96:97], v[48:49], v[24:25]
	v_fma_f64 v[56:57], v[106:107], v[48:49], v[30:31]
	s_clause 0x7
	buffer_load_dword v24, off, s[36:39], 0 offset:560
	buffer_load_dword v25, off, s[36:39], 0 offset:564
	;; [unrolled: 1-line block ×8, first 2 shown]
	v_fma_f64 v[22:23], v[86:87], v[48:49], v[22:23]
	v_fma_f64 v[26:27], v[98:99], v[48:49], v[26:27]
	;; [unrolled: 1-line block ×6, first 2 shown]
	s_waitcnt vmcnt(2)
	v_fma_f64 v[58:59], v[8:9], v[30:31], v[0:1]
	v_fma_f64 v[32:33], v[88:89], v[24:25], v[32:33]
	s_waitcnt vmcnt(0)
	v_fma_f64 v[0:1], v[10:11], v[30:31], v[2:3]
	buffer_store_dword v0, off, s[36:39], 0 offset:1112 ; 4-byte Folded Spill
	buffer_store_dword v1, off, s[36:39], 0 offset:1116 ; 4-byte Folded Spill
	s_clause 0x3
	buffer_load_dword v64, off, s[36:39], 0 offset:112
	buffer_load_dword v65, off, s[36:39], 0 offset:116
	;; [unrolled: 1-line block ×4, first 2 shown]
	v_fma_f64 v[40:41], v[96:97], v[24:25], v[40:41]
	v_fma_f64 v[42:43], v[98:99], v[24:25], v[42:43]
	;; [unrolled: 1-line block ×7, first 2 shown]
	s_waitcnt vmcnt(2)
	v_fma_f64 v[0:1], v[64:65], v[30:31], v[4:5]
	buffer_store_dword v0, off, s[36:39], 0 offset:864 ; 4-byte Folded Spill
	buffer_store_dword v1, off, s[36:39], 0 offset:868 ; 4-byte Folded Spill
	s_waitcnt vmcnt(0)
	v_fma_f64 v[0:1], v[66:67], v[30:31], v[6:7]
	buffer_store_dword v0, off, s[36:39], 0 offset:848 ; 4-byte Folded Spill
	buffer_store_dword v1, off, s[36:39], 0 offset:852 ; 4-byte Folded Spill
	s_clause 0x3
	buffer_load_dword v12, off, s[36:39], 0 offset:240
	buffer_load_dword v13, off, s[36:39], 0 offset:244
	;; [unrolled: 1-line block ×4, first 2 shown]
	s_waitcnt vmcnt(2)
	v_fma_f64 v[0:1], v[12:13], v[30:31], v[112:113]
	buffer_store_dword v0, off, s[36:39], 0 offset:768 ; 4-byte Folded Spill
	buffer_store_dword v1, off, s[36:39], 0 offset:772 ; 4-byte Folded Spill
	s_waitcnt vmcnt(0)
	v_fma_f64 v[0:1], v[14:15], v[30:31], v[126:127]
	buffer_store_dword v0, off, s[36:39], 0 offset:984 ; 4-byte Folded Spill
	buffer_store_dword v1, off, s[36:39], 0 offset:988 ; 4-byte Folded Spill
	s_clause 0x3
	buffer_load_dword v4, off, s[36:39], 0 offset:368
	buffer_load_dword v5, off, s[36:39], 0 offset:372
	;; [unrolled: 1-line block ×4, first 2 shown]
	s_waitcnt vmcnt(2)
	v_fma_f64 v[0:1], v[4:5], v[30:31], v[52:53]
	buffer_store_dword v0, off, s[36:39], 0 offset:912 ; 4-byte Folded Spill
	buffer_store_dword v1, off, s[36:39], 0 offset:916 ; 4-byte Folded Spill
	s_waitcnt vmcnt(0)
	v_fma_f64 v[0:1], v[6:7], v[30:31], v[54:55]
	buffer_store_dword v0, off, s[36:39], 0 offset:880 ; 4-byte Folded Spill
	buffer_store_dword v1, off, s[36:39], 0 offset:884 ; 4-byte Folded Spill
	s_clause 0x1
	buffer_load_dword v0, off, s[36:39], 0 offset:544
	buffer_load_dword v1, off, s[36:39], 0 offset:548
	s_waitcnt vmcnt(0)
	v_fma_f64 v[2:3], v[66:67], v[0:1], v[22:23]
	buffer_store_dword v2, off, s[36:39], 0 offset:1104 ; 4-byte Folded Spill
	buffer_store_dword v3, off, s[36:39], 0 offset:1108 ; 4-byte Folded Spill
	v_fma_f64 v[2:3], v[12:13], v[0:1], v[50:51]
	buffer_store_dword v2, off, s[36:39], 0 offset:832 ; 4-byte Folded Spill
	buffer_store_dword v3, off, s[36:39], 0 offset:836 ; 4-byte Folded Spill
	;; [unrolled: 3-line block ×3, first 2 shown]
	v_fma_f64 v[54:55], v[8:9], v[0:1], v[16:17]
	v_fma_f64 v[112:113], v[10:11], v[0:1], v[18:19]
	;; [unrolled: 1-line block ×5, first 2 shown]
	buffer_store_dword v2, off, s[36:39], 0 offset:576 ; 4-byte Folded Spill
	buffer_store_dword v3, off, s[36:39], 0 offset:580 ; 4-byte Folded Spill
	;; [unrolled: 1-line block ×4, first 2 shown]
	s_clause 0x1
	buffer_load_dword v0, off, s[36:39], 0 offset:1416
	buffer_load_dword v1, off, s[36:39], 0 offset:1420
	v_mov_b32_e32 v19, v11
	v_mov_b32_e32 v18, v10
	;; [unrolled: 1-line block ×16, first 2 shown]
	s_waitcnt vmcnt(0)
	v_fma_f64 v[2:3], v[8:9], v[0:1], v[32:33]
	v_fma_f64 v[8:9], v[12:13], v[0:1], v[40:41]
	buffer_store_dword v8, off, s[36:39], 0 offset:1000 ; 4-byte Folded Spill
	buffer_store_dword v9, off, s[36:39], 0 offset:1004 ; 4-byte Folded Spill
	v_fma_f64 v[8:9], v[14:15], v[0:1], v[42:43]
	buffer_store_dword v8, off, s[36:39], 0 offset:992 ; 4-byte Folded Spill
	buffer_store_dword v9, off, s[36:39], 0 offset:996 ; 4-byte Folded Spill
	v_fma_f64 v[30:31], v[10:11], v[0:1], v[34:35]
	v_fma_f64 v[56:57], v[64:65], v[0:1], v[36:37]
	v_fma_f64 v[28:29], v[66:67], v[0:1], v[38:39]
	v_fma_f64 v[8:9], v[4:5], v[0:1], v[44:45]
	v_fma_f64 v[0:1], v[6:7], v[0:1], v[46:47]
	buffer_store_dword v8, off, s[36:39], 0 offset:544 ; 4-byte Folded Spill
	buffer_store_dword v9, off, s[36:39], 0 offset:548 ; 4-byte Folded Spill
	;; [unrolled: 1-line block ×4, first 2 shown]
	s_clause 0x1
	buffer_load_dword v0, off, s[36:39], 0 offset:960
	buffer_load_dword v1, off, s[36:39], 0 offset:964
	s_waitcnt vmcnt(0)
	v_fma_f64 v[6:7], v[68:69], v[0:1], 0
	v_fma_f64 v[8:9], v[70:71], v[0:1], 0
	v_fma_f64 v[10:11], v[72:73], v[0:1], 0
	v_fma_f64 v[12:13], v[74:75], v[0:1], 0
	v_fma_f64 v[14:15], v[60:61], v[0:1], 0
	v_fma_f64 v[32:33], v[62:63], v[0:1], 0
	v_fma_f64 v[34:35], v[80:81], v[0:1], 0
	v_fma_f64 v[36:37], v[82:83], v[0:1], 0
	s_clause 0x1
	buffer_load_dword v0, off, s[36:39], 0 offset:432
	buffer_load_dword v1, off, s[36:39], 0 offset:436
	s_waitcnt vmcnt(0)
	v_fma_f64 v[6:7], v[100:101], v[0:1], v[6:7]
	v_fma_f64 v[8:9], v[102:103], v[0:1], v[8:9]
	v_fma_f64 v[10:11], v[76:77], v[0:1], v[10:11]
	v_fma_f64 v[12:13], v[78:79], v[0:1], v[12:13]
	v_fma_f64 v[14:15], v[114:115], v[0:1], v[14:15]
	v_fma_f64 v[32:33], v[116:117], v[0:1], v[32:33]
	v_fma_f64 v[34:35], v[92:93], v[0:1], v[34:35]
	v_fma_f64 v[36:37], v[94:95], v[0:1], v[36:37]
	;; [unrolled: 12-line block ×4, first 2 shown]
	s_clause 0x11
	buffer_load_dword v0, off, s[36:39], 0 offset:784
	buffer_load_dword v1, off, s[36:39], 0 offset:788
	;; [unrolled: 1-line block ×18, first 2 shown]
	s_waitcnt vmcnt(14)
	v_fma_f64 v[6:7], v[80:81], v[0:1], v[6:7]
	s_waitcnt vmcnt(10)
	v_fma_f64 v[10:11], v[76:77], v[0:1], v[10:11]
	v_fma_f64 v[8:9], v[82:83], v[0:1], v[8:9]
	s_waitcnt vmcnt(8)
	v_fma_f64 v[12:13], v[78:79], v[0:1], v[12:13]
	s_waitcnt vmcnt(6)
	;; [unrolled: 2-line block ×5, first 2 shown]
	v_fma_f64 v[36:37], v[68:69], v[0:1], v[36:37]
	s_clause 0x1
	buffer_load_dword v0, off, s[36:39], 0 offset:448
	buffer_load_dword v1, off, s[36:39], 0 offset:452
	s_waitcnt vmcnt(0)
	v_fma_f64 v[38:39], v[80:81], v[0:1], v[38:39]
	v_fma_f64 v[40:41], v[82:83], v[0:1], v[40:41]
	;; [unrolled: 1-line block ×8, first 2 shown]
	s_clause 0x15
	buffer_load_dword v66, off, s[36:39], 0 offset:688
	buffer_load_dword v67, off, s[36:39], 0 offset:692
	;; [unrolled: 1-line block ×10, first 2 shown]
	buffer_load_dword v76, off, s[36:39], 0
	buffer_load_dword v77, off, s[36:39], 0 offset:4
	buffer_load_dword v78, off, s[36:39], 0 offset:8
	;; [unrolled: 1-line block ×11, first 2 shown]
	s_waitcnt vmcnt(14)
	v_fma_f64 v[6:7], v[80:81], v[0:1], v[6:7]
	s_waitcnt vmcnt(10)
	v_fma_f64 v[10:11], v[76:77], v[0:1], v[10:11]
	v_fma_f64 v[8:9], v[82:83], v[0:1], v[8:9]
	s_waitcnt vmcnt(8)
	v_fma_f64 v[12:13], v[78:79], v[0:1], v[12:13]
	s_waitcnt vmcnt(6)
	;; [unrolled: 2-line block ×5, first 2 shown]
	v_fma_f64 v[36:37], v[72:73], v[0:1], v[36:37]
	s_clause 0x1
	buffer_load_dword v0, off, s[36:39], 0 offset:464
	buffer_load_dword v1, off, s[36:39], 0 offset:468
	s_waitcnt vmcnt(0)
	v_fma_f64 v[38:39], v[80:81], v[0:1], v[38:39]
	v_fma_f64 v[40:41], v[82:83], v[0:1], v[40:41]
	;; [unrolled: 1-line block ×8, first 2 shown]
	s_clause 0x11
	buffer_load_dword v0, off, s[36:39], 0 offset:736
	buffer_load_dword v1, off, s[36:39], 0 offset:740
	;; [unrolled: 1-line block ×18, first 2 shown]
	s_waitcnt vmcnt(14)
	v_fma_f64 v[6:7], v[92:93], v[0:1], v[6:7]
	s_waitcnt vmcnt(10)
	v_fma_f64 v[10:11], v[80:81], v[0:1], v[10:11]
	v_fma_f64 v[8:9], v[94:95], v[0:1], v[8:9]
	s_waitcnt vmcnt(8)
	v_fma_f64 v[12:13], v[82:83], v[0:1], v[12:13]
	s_waitcnt vmcnt(6)
	;; [unrolled: 2-line block ×5, first 2 shown]
	v_fma_f64 v[36:37], v[72:73], v[0:1], v[36:37]
	s_clause 0x1
	buffer_load_dword v0, off, s[36:39], 0 offset:592
	buffer_load_dword v1, off, s[36:39], 0 offset:596
	s_waitcnt vmcnt(0)
	v_fma_f64 v[38:39], v[92:93], v[0:1], v[38:39]
	v_fma_f64 v[40:41], v[94:95], v[0:1], v[40:41]
	v_fma_f64 v[42:43], v[80:81], v[0:1], v[42:43]
	v_fma_f64 v[44:45], v[82:83], v[0:1], v[44:45]
	v_fma_f64 v[46:47], v[76:77], v[0:1], v[46:47]
	v_fma_f64 v[60:61], v[78:79], v[0:1], v[60:61]
	v_fma_f64 v[64:65], v[70:71], v[0:1], v[64:65]
	v_fma_f64 v[74:75], v[72:73], v[0:1], v[74:75]
	s_clause 0x1
	buffer_load_dword v0, off, s[36:39], 0 offset:752
	buffer_load_dword v1, off, s[36:39], 0 offset:756
	s_waitcnt vmcnt(0)
	v_fma_f64 v[6:7], v[66:67], v[0:1], v[6:7]
	v_fma_f64 v[8:9], v[68:69], v[0:1], v[8:9]
	v_fma_f64 v[10:11], v[108:109], v[0:1], v[10:11]
	v_fma_f64 v[12:13], v[110:111], v[0:1], v[12:13]
	v_fma_f64 v[14:15], v[118:119], v[0:1], v[14:15]
	v_fma_f64 v[32:33], v[120:121], v[0:1], v[32:33]
	v_fma_f64 v[34:35], v[122:123], v[0:1], v[34:35]
	;; [unrolled: 12-line block ×5, first 2 shown]
	v_fma_f64 v[74:75], v[106:107], v[0:1], v[74:75]
	s_clause 0x3
	buffer_load_dword v0, off, s[36:39], 0 offset:528
	buffer_load_dword v1, off, s[36:39], 0 offset:532
	;; [unrolled: 1-line block ×4, first 2 shown]
	s_waitcnt vmcnt(2)
	v_fma_f64 v[6:7], v[16:17], v[0:1], v[6:7]
	v_fma_f64 v[8:9], v[18:19], v[0:1], v[8:9]
	;; [unrolled: 1-line block ×8, first 2 shown]
	s_waitcnt vmcnt(0)
	v_fma_f64 v[38:39], v[16:17], v[4:5], v[38:39]
	v_fma_f64 v[40:41], v[18:19], v[4:5], v[40:41]
	;; [unrolled: 1-line block ×8, first 2 shown]
	s_clause 0x5
	buffer_load_dword v96, off, s[36:39], 0 offset:2048
	buffer_load_dword v97, off, s[36:39], 0 offset:2052
	buffer_load_dword v98, off, s[36:39], 0 offset:2056
	buffer_load_dword v99, off, s[36:39], 0 offset:2060
	buffer_load_dword v52, off, s[36:39], 0 offset:1384
	buffer_load_dword v53, off, s[36:39], 0 offset:1388
	s_waitcnt vmcnt(0)
	v_add_f64 v[68:69], v[96:97], v[52:53]
	s_clause 0x1
	buffer_load_dword v52, off, s[36:39], 0 offset:1400
	buffer_load_dword v53, off, s[36:39], 0 offset:1404
	s_waitcnt vmcnt(0)
	v_add_f64 v[70:71], v[98:99], v[52:53]
	buffer_store_dword v68, off, s[36:39], 0 offset:256 ; 4-byte Folded Spill
	buffer_store_dword v69, off, s[36:39], 0 offset:260 ; 4-byte Folded Spill
	buffer_store_dword v70, off, s[36:39], 0 offset:264 ; 4-byte Folded Spill
	buffer_store_dword v71, off, s[36:39], 0 offset:268 ; 4-byte Folded Spill
	s_clause 0x5
	buffer_load_dword v96, off, s[36:39], 0 offset:2032
	buffer_load_dword v97, off, s[36:39], 0 offset:2036
	;; [unrolled: 1-line block ×6, first 2 shown]
	s_waitcnt vmcnt(2)
	v_add_f64 v[70:71], v[98:99], v[58:59]
	s_waitcnt vmcnt(0)
	v_add_f64 v[68:69], v[96:97], v[52:53]
	buffer_store_dword v68, off, s[36:39], 0 offset:432 ; 4-byte Folded Spill
	buffer_store_dword v69, off, s[36:39], 0 offset:436 ; 4-byte Folded Spill
	;; [unrolled: 1-line block ×4, first 2 shown]
	s_clause 0x7
	buffer_load_dword v96, off, s[36:39], 0 offset:2016
	buffer_load_dword v97, off, s[36:39], 0 offset:2020
	;; [unrolled: 1-line block ×8, first 2 shown]
	s_waitcnt vmcnt(6)
	v_add_f64 v[104:105], v[96:97], v[54:55]
	s_waitcnt vmcnt(2)
	v_add_f64 v[16:17], v[74:75], v[6:7]
	v_add_f64 v[106:107], v[98:99], v[2:3]
	s_waitcnt vmcnt(0)
	v_add_f64 v[18:19], v[76:77], v[38:39]
	buffer_store_dword v16, off, s[36:39], 0 offset:800 ; 4-byte Folded Spill
	buffer_store_dword v17, off, s[36:39], 0 offset:804 ; 4-byte Folded Spill
	;; [unrolled: 1-line block ×4, first 2 shown]
	s_clause 0x5
	buffer_load_dword v74, off, s[36:39], 0 offset:2112
	buffer_load_dword v75, off, s[36:39], 0 offset:2116
	;; [unrolled: 1-line block ×6, first 2 shown]
	s_waitcnt vmcnt(0)
	v_add_f64 v[68:69], v[74:75], v[2:3]
	s_clause 0x1
	buffer_load_dword v2, off, s[36:39], 0 offset:1376
	buffer_load_dword v3, off, s[36:39], 0 offset:1380
	s_waitcnt vmcnt(0)
	v_add_f64 v[70:71], v[76:77], v[2:3]
	buffer_store_dword v68, off, s[36:39], 0 offset:448 ; 4-byte Folded Spill
	buffer_store_dword v69, off, s[36:39], 0 offset:452 ; 4-byte Folded Spill
	buffer_store_dword v70, off, s[36:39], 0 offset:456 ; 4-byte Folded Spill
	buffer_store_dword v71, off, s[36:39], 0 offset:460 ; 4-byte Folded Spill
	s_clause 0x5
	buffer_load_dword v74, off, s[36:39], 0 offset:2096
	buffer_load_dword v75, off, s[36:39], 0 offset:2100
	;; [unrolled: 1-line block ×6, first 2 shown]
	s_waitcnt vmcnt(0)
	v_add_f64 v[68:69], v[74:75], v[2:3]
	s_clause 0x1
	buffer_load_dword v2, off, s[36:39], 0 offset:1112
	buffer_load_dword v3, off, s[36:39], 0 offset:1116
	s_waitcnt vmcnt(0)
	v_add_f64 v[70:71], v[76:77], v[2:3]
	buffer_store_dword v68, off, s[36:39], 0 offset:416 ; 4-byte Folded Spill
	buffer_store_dword v69, off, s[36:39], 0 offset:420 ; 4-byte Folded Spill
	buffer_store_dword v70, off, s[36:39], 0 offset:424 ; 4-byte Folded Spill
	buffer_store_dword v71, off, s[36:39], 0 offset:428 ; 4-byte Folded Spill
	s_clause 0x3
	buffer_load_dword v58, off, s[36:39], 0 offset:2080
	buffer_load_dword v59, off, s[36:39], 0 offset:2084
	;; [unrolled: 1-line block ×4, first 2 shown]
	s_waitcnt vmcnt(2)
	v_add_f64 v[100:101], v[58:59], v[112:113]
	s_waitcnt vmcnt(0)
	v_add_f64 v[102:103], v[60:61], v[30:31]
	s_clause 0x3
	buffer_load_dword v58, off, s[36:39], 0 offset:2064
	buffer_load_dword v59, off, s[36:39], 0 offset:2068
	;; [unrolled: 1-line block ×4, first 2 shown]
	s_waitcnt vmcnt(2)
	v_add_f64 v[6:7], v[58:59], v[8:9]
	s_waitcnt vmcnt(0)
	v_add_f64 v[8:9], v[60:61], v[40:41]
	buffer_store_dword v6, off, s[36:39], 0 offset:784 ; 4-byte Folded Spill
	buffer_store_dword v7, off, s[36:39], 0 offset:788 ; 4-byte Folded Spill
	;; [unrolled: 1-line block ×4, first 2 shown]
	s_clause 0x5
	buffer_load_dword v6, off, s[36:39], 0 offset:2176
	buffer_load_dword v7, off, s[36:39], 0 offset:2180
	buffer_load_dword v8, off, s[36:39], 0 offset:2184
	buffer_load_dword v9, off, s[36:39], 0 offset:2188
	buffer_load_dword v2, off, s[36:39], 0 offset:1320
	buffer_load_dword v3, off, s[36:39], 0 offset:1324
	s_waitcnt vmcnt(0)
	v_add_f64 v[108:109], v[6:7], v[2:3]
	s_clause 0x1
	buffer_load_dword v2, off, s[36:39], 0 offset:1344
	buffer_load_dword v3, off, s[36:39], 0 offset:1348
	s_waitcnt vmcnt(0)
	v_add_f64 v[110:111], v[8:9], v[2:3]
	s_clause 0x5
	buffer_load_dword v6, off, s[36:39], 0 offset:2160
	buffer_load_dword v7, off, s[36:39], 0 offset:2164
	;; [unrolled: 1-line block ×6, first 2 shown]
	s_waitcnt vmcnt(0)
	v_add_f64 v[6:7], v[6:7], v[2:3]
	s_clause 0x1
	buffer_load_dword v2, off, s[36:39], 0 offset:864
	buffer_load_dword v3, off, s[36:39], 0 offset:868
	s_waitcnt vmcnt(0)
	v_add_f64 v[8:9], v[8:9], v[2:3]
	buffer_store_dword v6, off, s[36:39], 0 offset:864 ; 4-byte Folded Spill
	buffer_store_dword v7, off, s[36:39], 0 offset:868 ; 4-byte Folded Spill
	;; [unrolled: 1-line block ×4, first 2 shown]
	s_clause 0x3
	buffer_load_dword v6, off, s[36:39], 0 offset:2144
	buffer_load_dword v7, off, s[36:39], 0 offset:2148
	;; [unrolled: 1-line block ×4, first 2 shown]
	s_waitcnt vmcnt(2)
	v_add_f64 v[6:7], v[6:7], v[126:127]
	s_waitcnt vmcnt(0)
	v_add_f64 v[8:9], v[8:9], v[56:57]
	buffer_store_dword v6, off, s[36:39], 0 offset:480 ; 4-byte Folded Spill
	buffer_store_dword v7, off, s[36:39], 0 offset:484 ; 4-byte Folded Spill
	buffer_store_dword v8, off, s[36:39], 0 offset:488 ; 4-byte Folded Spill
	buffer_store_dword v9, off, s[36:39], 0 offset:492 ; 4-byte Folded Spill
	s_clause 0x3
	buffer_load_dword v6, off, s[36:39], 0 offset:2128
	buffer_load_dword v7, off, s[36:39], 0 offset:2132
	buffer_load_dword v8, off, s[36:39], 0 offset:2136
	buffer_load_dword v9, off, s[36:39], 0 offset:2140
	s_waitcnt vmcnt(2)
	v_add_f64 v[72:73], v[6:7], v[10:11]
	s_waitcnt vmcnt(0)
	v_add_f64 v[74:75], v[8:9], v[42:43]
	s_clause 0x5
	buffer_load_dword v6, off, s[36:39], 0 offset:2240
	buffer_load_dword v7, off, s[36:39], 0 offset:2244
	;; [unrolled: 1-line block ×6, first 2 shown]
	s_waitcnt vmcnt(0)
	v_add_f64 v[64:65], v[6:7], v[2:3]
	s_clause 0x1
	buffer_load_dword v2, off, s[36:39], 0 offset:1328
	buffer_load_dword v3, off, s[36:39], 0 offset:1332
	s_waitcnt vmcnt(0)
	v_add_f64 v[66:67], v[8:9], v[2:3]
	s_clause 0x5
	buffer_load_dword v6, off, s[36:39], 0 offset:2224
	buffer_load_dword v7, off, s[36:39], 0 offset:2228
	;; [unrolled: 1-line block ×6, first 2 shown]
	s_waitcnt vmcnt(0)
	v_add_f64 v[6:7], v[6:7], v[2:3]
	s_clause 0x1
	buffer_load_dword v2, off, s[36:39], 0 offset:848
	buffer_load_dword v3, off, s[36:39], 0 offset:852
	s_waitcnt vmcnt(0)
	v_add_f64 v[8:9], v[8:9], v[2:3]
	buffer_store_dword v6, off, s[36:39], 0 offset:464 ; 4-byte Folded Spill
	buffer_store_dword v7, off, s[36:39], 0 offset:468 ; 4-byte Folded Spill
	;; [unrolled: 1-line block ×4, first 2 shown]
	s_clause 0x5
	buffer_load_dword v6, off, s[36:39], 0 offset:2208
	buffer_load_dword v7, off, s[36:39], 0 offset:2212
	;; [unrolled: 1-line block ×6, first 2 shown]
	s_waitcnt vmcnt(2)
	v_add_f64 v[78:79], v[8:9], v[28:29]
	s_waitcnt vmcnt(0)
	v_add_f64 v[76:77], v[6:7], v[2:3]
	s_clause 0x3
	buffer_load_dword v6, off, s[36:39], 0 offset:2192
	buffer_load_dword v7, off, s[36:39], 0 offset:2196
	;; [unrolled: 1-line block ×4, first 2 shown]
	s_waitcnt vmcnt(2)
	v_add_f64 v[84:85], v[6:7], v[12:13]
	s_waitcnt vmcnt(0)
	v_add_f64 v[86:87], v[8:9], v[44:45]
	s_clause 0x5
	buffer_load_dword v6, off, s[36:39], 0 offset:2304
	buffer_load_dword v7, off, s[36:39], 0 offset:2308
	buffer_load_dword v8, off, s[36:39], 0 offset:2312
	buffer_load_dword v9, off, s[36:39], 0 offset:2316
	buffer_load_dword v2, off, s[36:39], 0 offset:1208
	buffer_load_dword v3, off, s[36:39], 0 offset:1212
	s_waitcnt vmcnt(0)
	v_add_f64 v[6:7], v[6:7], v[2:3]
	s_clause 0x1
	buffer_load_dword v2, off, s[36:39], 0 offset:1304
	buffer_load_dword v3, off, s[36:39], 0 offset:1308
	s_waitcnt vmcnt(0)
	v_add_f64 v[8:9], v[8:9], v[2:3]
	buffer_store_dword v6, off, s[36:39], 0 offset:848 ; 4-byte Folded Spill
	buffer_store_dword v7, off, s[36:39], 0 offset:852 ; 4-byte Folded Spill
	buffer_store_dword v8, off, s[36:39], 0 offset:856 ; 4-byte Folded Spill
	buffer_store_dword v9, off, s[36:39], 0 offset:860 ; 4-byte Folded Spill
	s_clause 0x5
	buffer_load_dword v6, off, s[36:39], 0 offset:2288
	buffer_load_dword v7, off, s[36:39], 0 offset:2292
	buffer_load_dword v8, off, s[36:39], 0 offset:2296
	buffer_load_dword v9, off, s[36:39], 0 offset:2300
	buffer_load_dword v2, off, s[36:39], 0 offset:1336
	buffer_load_dword v3, off, s[36:39], 0 offset:1340
	s_waitcnt vmcnt(0)
	v_add_f64 v[6:7], v[6:7], v[2:3]
	s_clause 0x1
	buffer_load_dword v2, off, s[36:39], 0 offset:768
	buffer_load_dword v3, off, s[36:39], 0 offset:772
	s_waitcnt vmcnt(0)
	v_add_f64 v[8:9], v[8:9], v[2:3]
	buffer_store_dword v6, off, s[36:39], 0 offset:752 ; 4-byte Folded Spill
	buffer_store_dword v7, off, s[36:39], 0 offset:756 ; 4-byte Folded Spill
	buffer_store_dword v8, off, s[36:39], 0 offset:760 ; 4-byte Folded Spill
	buffer_store_dword v9, off, s[36:39], 0 offset:764 ; 4-byte Folded Spill
	;; [unrolled: 18-line block ×3, first 2 shown]
	s_clause 0x3
	buffer_load_dword v6, off, s[36:39], 0 offset:2256
	buffer_load_dword v7, off, s[36:39], 0 offset:2260
	;; [unrolled: 1-line block ×4, first 2 shown]
	s_waitcnt vmcnt(2)
	v_add_f64 v[6:7], v[6:7], v[14:15]
	s_waitcnt vmcnt(0)
	v_add_f64 v[8:9], v[8:9], v[46:47]
	buffer_store_dword v6, off, s[36:39], 0 offset:832 ; 4-byte Folded Spill
	buffer_store_dword v7, off, s[36:39], 0 offset:836 ; 4-byte Folded Spill
	buffer_store_dword v8, off, s[36:39], 0 offset:840 ; 4-byte Folded Spill
	buffer_store_dword v9, off, s[36:39], 0 offset:844 ; 4-byte Folded Spill
	s_clause 0x5
	buffer_load_dword v6, off, s[36:39], 0 offset:2368
	buffer_load_dword v7, off, s[36:39], 0 offset:2372
	buffer_load_dword v8, off, s[36:39], 0 offset:2376
	buffer_load_dword v9, off, s[36:39], 0 offset:2380
	buffer_load_dword v2, off, s[36:39], 0 offset:1184
	buffer_load_dword v3, off, s[36:39], 0 offset:1188
	s_waitcnt vmcnt(0)
	v_add_f64 v[6:7], v[6:7], v[2:3]
	s_clause 0x1
	buffer_load_dword v2, off, s[36:39], 0 offset:1216
	buffer_load_dword v3, off, s[36:39], 0 offset:1220
	s_waitcnt vmcnt(0)
	v_add_f64 v[8:9], v[8:9], v[2:3]
	buffer_store_dword v6, off, s[36:39], 0 offset:768 ; 4-byte Folded Spill
	buffer_store_dword v7, off, s[36:39], 0 offset:772 ; 4-byte Folded Spill
	buffer_store_dword v8, off, s[36:39], 0 offset:776 ; 4-byte Folded Spill
	buffer_store_dword v9, off, s[36:39], 0 offset:780 ; 4-byte Folded Spill
	s_clause 0x5
	buffer_load_dword v6, off, s[36:39], 0 offset:2352
	buffer_load_dword v7, off, s[36:39], 0 offset:2356
	buffer_load_dword v8, off, s[36:39], 0 offset:2360
	buffer_load_dword v9, off, s[36:39], 0 offset:2364
	buffer_load_dword v2, off, s[36:39], 0 offset:1312
	buffer_load_dword v3, off, s[36:39], 0 offset:1316
	s_waitcnt vmcnt(0)
	v_add_f64 v[6:7], v[6:7], v[2:3]
	s_clause 0x1
	buffer_load_dword v2, off, s[36:39], 0 offset:984
	buffer_load_dword v3, off, s[36:39], 0 offset:988
	;; [unrolled: 18-line block ×3, first 2 shown]
	s_waitcnt vmcnt(0)
	v_add_f64 v[8:9], v[8:9], v[2:3]
	buffer_store_dword v6, off, s[36:39], 0 offset:592 ; 4-byte Folded Spill
	buffer_store_dword v7, off, s[36:39], 0 offset:596 ; 4-byte Folded Spill
	;; [unrolled: 1-line block ×4, first 2 shown]
	s_clause 0x3
	buffer_load_dword v6, off, s[36:39], 0 offset:2320
	buffer_load_dword v7, off, s[36:39], 0 offset:2324
	;; [unrolled: 1-line block ×4, first 2 shown]
	s_waitcnt vmcnt(2)
	v_add_f64 v[10:11], v[6:7], v[32:33]
	s_waitcnt vmcnt(0)
	v_add_f64 v[12:13], v[8:9], v[48:49]
	s_clause 0x5
	buffer_load_dword v6, off, s[36:39], 0 offset:2432
	buffer_load_dword v7, off, s[36:39], 0 offset:2436
	;; [unrolled: 1-line block ×6, first 2 shown]
	s_waitcnt vmcnt(0)
	v_add_f64 v[6:7], v[6:7], v[2:3]
	s_clause 0x1
	buffer_load_dword v2, off, s[36:39], 0 offset:1192
	buffer_load_dword v3, off, s[36:39], 0 offset:1196
	s_waitcnt vmcnt(0)
	v_add_f64 v[8:9], v[8:9], v[2:3]
	buffer_store_dword v6, off, s[36:39], 0 offset:560 ; 4-byte Folded Spill
	buffer_store_dword v7, off, s[36:39], 0 offset:564 ; 4-byte Folded Spill
	;; [unrolled: 1-line block ×4, first 2 shown]
	s_clause 0x5
	buffer_load_dword v6, off, s[36:39], 0 offset:2416
	buffer_load_dword v7, off, s[36:39], 0 offset:2420
	;; [unrolled: 1-line block ×6, first 2 shown]
	s_waitcnt vmcnt(0)
	v_add_f64 v[14:15], v[6:7], v[2:3]
	s_clause 0x1
	buffer_load_dword v2, off, s[36:39], 0 offset:912
	buffer_load_dword v3, off, s[36:39], 0 offset:916
	s_waitcnt vmcnt(0)
	v_add_f64 v[16:17], v[8:9], v[2:3]
	s_clause 0x5
	buffer_load_dword v6, off, s[36:39], 0 offset:2400
	buffer_load_dword v7, off, s[36:39], 0 offset:2404
	;; [unrolled: 1-line block ×6, first 2 shown]
	s_waitcnt vmcnt(0)
	v_add_f64 v[6:7], v[6:7], v[2:3]
	s_clause 0x1
	buffer_load_dword v2, off, s[36:39], 0 offset:544
	buffer_load_dword v3, off, s[36:39], 0 offset:548
	s_waitcnt vmcnt(0)
	v_add_f64 v[8:9], v[8:9], v[2:3]
	buffer_store_dword v6, off, s[36:39], 0 offset:512 ; 4-byte Folded Spill
	buffer_store_dword v7, off, s[36:39], 0 offset:516 ; 4-byte Folded Spill
	;; [unrolled: 1-line block ×4, first 2 shown]
	s_clause 0x3
	buffer_load_dword v6, off, s[36:39], 0 offset:2384
	buffer_load_dword v7, off, s[36:39], 0 offset:2388
	buffer_load_dword v8, off, s[36:39], 0 offset:2392
	buffer_load_dword v9, off, s[36:39], 0 offset:2396
	s_waitcnt vmcnt(2)
	v_add_f64 v[6:7], v[6:7], v[34:35]
	s_waitcnt vmcnt(0)
	v_add_f64 v[8:9], v[8:9], v[0:1]
	buffer_store_dword v6, off, s[36:39], 0 offset:576 ; 4-byte Folded Spill
	buffer_store_dword v7, off, s[36:39], 0 offset:580 ; 4-byte Folded Spill
	buffer_store_dword v8, off, s[36:39], 0 offset:584 ; 4-byte Folded Spill
	buffer_store_dword v9, off, s[36:39], 0 offset:588 ; 4-byte Folded Spill
	s_clause 0x5
	buffer_load_dword v0, off, s[36:39], 0 offset:2496
	buffer_load_dword v1, off, s[36:39], 0 offset:2500
	buffer_load_dword v2, off, s[36:39], 0 offset:2504
	buffer_load_dword v3, off, s[36:39], 0 offset:2508
	buffer_load_dword v6, off, s[36:39], 0 offset:896
	buffer_load_dword v7, off, s[36:39], 0 offset:900
	s_waitcnt vmcnt(0)
	v_add_f64 v[0:1], v[0:1], v[6:7]
	s_clause 0x1
	buffer_load_dword v6, off, s[36:39], 0 offset:1176
	buffer_load_dword v7, off, s[36:39], 0 offset:1180
	s_waitcnt vmcnt(0)
	v_add_f64 v[2:3], v[2:3], v[6:7]
	buffer_store_dword v0, off, s[36:39], 0 offset:544 ; 4-byte Folded Spill
	buffer_store_dword v1, off, s[36:39], 0 offset:548 ; 4-byte Folded Spill
	buffer_store_dword v2, off, s[36:39], 0 offset:552 ; 4-byte Folded Spill
	buffer_store_dword v3, off, s[36:39], 0 offset:556 ; 4-byte Folded Spill
	s_clause 0x5
	buffer_load_dword v0, off, s[36:39], 0 offset:2480
	buffer_load_dword v1, off, s[36:39], 0 offset:2484
	buffer_load_dword v2, off, s[36:39], 0 offset:2488
	buffer_load_dword v3, off, s[36:39], 0 offset:2492
	buffer_load_dword v6, off, s[36:39], 0 offset:1200
	buffer_load_dword v7, off, s[36:39], 0 offset:1204
	s_waitcnt vmcnt(0)
	v_add_f64 v[0:1], v[0:1], v[6:7]
	s_clause 0x1
	buffer_load_dword v6, off, s[36:39], 0 offset:880
	buffer_load_dword v7, off, s[36:39], 0 offset:884
	;; [unrolled: 18-line block ×3, first 2 shown]
	s_waitcnt vmcnt(0)
	v_add_f64 v[2:3], v[2:3], v[6:7]
	buffer_store_dword v0, off, s[36:39], 0 offset:496 ; 4-byte Folded Spill
	buffer_store_dword v1, off, s[36:39], 0 offset:500 ; 4-byte Folded Spill
	;; [unrolled: 1-line block ×4, first 2 shown]
	s_clause 0x3
	buffer_load_dword v0, off, s[36:39], 0 offset:2448
	buffer_load_dword v1, off, s[36:39], 0 offset:2452
	;; [unrolled: 1-line block ×4, first 2 shown]
	s_waitcnt vmcnt(2)
	v_add_f64 v[92:93], v[0:1], v[36:37]
	s_clause 0x3
	buffer_load_dword v32, off, s[36:39], 0 offset:400
	buffer_load_dword v33, off, s[36:39], 0 offset:404
	;; [unrolled: 1-line block ×4, first 2 shown]
	s_waitcnt vmcnt(4)
	v_add_f64 v[94:95], v[2:3], v[4:5]
	s_waitcnt vmcnt(0)
	global_store_dwordx2 v[32:33], v[0:1], off
	s_clause 0xf
	buffer_load_dword v112, off, s[36:39], 0 offset:1040
	buffer_load_dword v113, off, s[36:39], 0 offset:1044
	;; [unrolled: 1-line block ×16, first 2 shown]
	s_branch .LBB0_41
.LBB0_51:
	s_endpgm
	.section	.rodata,"a",@progbits
	.p2align	6, 0x0
	.amdhsa_kernel _Z6kalmanILi8EEvPKdiS1_S1_S1_S1_S1_bS1_iPdS2_S2_iiS2_bS2_
		.amdhsa_group_segment_fixed_size 0
		.amdhsa_private_segment_fixed_size 2540
		.amdhsa_kernarg_size 392
		.amdhsa_user_sgpr_count 6
		.amdhsa_user_sgpr_private_segment_buffer 1
		.amdhsa_user_sgpr_dispatch_ptr 0
		.amdhsa_user_sgpr_queue_ptr 0
		.amdhsa_user_sgpr_kernarg_segment_ptr 1
		.amdhsa_user_sgpr_dispatch_id 0
		.amdhsa_user_sgpr_flat_scratch_init 0
		.amdhsa_user_sgpr_private_segment_size 0
		.amdhsa_wavefront_size32 1
		.amdhsa_uses_dynamic_stack 0
		.amdhsa_system_sgpr_private_segment_wavefront_offset 1
		.amdhsa_system_sgpr_workgroup_id_x 1
		.amdhsa_system_sgpr_workgroup_id_y 0
		.amdhsa_system_sgpr_workgroup_id_z 0
		.amdhsa_system_sgpr_workgroup_info 0
		.amdhsa_system_vgpr_workitem_id 0
		.amdhsa_next_free_vgpr 128
		.amdhsa_next_free_sgpr 40
		.amdhsa_reserve_vcc 1
		.amdhsa_reserve_flat_scratch 0
		.amdhsa_float_round_mode_32 0
		.amdhsa_float_round_mode_16_64 0
		.amdhsa_float_denorm_mode_32 3
		.amdhsa_float_denorm_mode_16_64 3
		.amdhsa_dx10_clamp 1
		.amdhsa_ieee_mode 1
		.amdhsa_fp16_overflow 0
		.amdhsa_workgroup_processor_mode 1
		.amdhsa_memory_ordered 1
		.amdhsa_forward_progress 1
		.amdhsa_shared_vgpr_count 0
		.amdhsa_exception_fp_ieee_invalid_op 0
		.amdhsa_exception_fp_denorm_src 0
		.amdhsa_exception_fp_ieee_div_zero 0
		.amdhsa_exception_fp_ieee_overflow 0
		.amdhsa_exception_fp_ieee_underflow 0
		.amdhsa_exception_fp_ieee_inexact 0
		.amdhsa_exception_int_div_zero 0
	.end_amdhsa_kernel
	.section	.text._Z6kalmanILi8EEvPKdiS1_S1_S1_S1_S1_bS1_iPdS2_S2_iiS2_bS2_,"axG",@progbits,_Z6kalmanILi8EEvPKdiS1_S1_S1_S1_S1_bS1_iPdS2_S2_iiS2_bS2_,comdat
.Lfunc_end0:
	.size	_Z6kalmanILi8EEvPKdiS1_S1_S1_S1_S1_bS1_iPdS2_S2_iiS2_bS2_, .Lfunc_end0-_Z6kalmanILi8EEvPKdiS1_S1_S1_S1_S1_bS1_iPdS2_S2_iiS2_bS2_
                                        ; -- End function
	.set _Z6kalmanILi8EEvPKdiS1_S1_S1_S1_S1_bS1_iPdS2_S2_iiS2_bS2_.num_vgpr, 128
	.set _Z6kalmanILi8EEvPKdiS1_S1_S1_S1_S1_bS1_iPdS2_S2_iiS2_bS2_.num_agpr, 0
	.set _Z6kalmanILi8EEvPKdiS1_S1_S1_S1_S1_bS1_iPdS2_S2_iiS2_bS2_.numbered_sgpr, 40
	.set _Z6kalmanILi8EEvPKdiS1_S1_S1_S1_S1_bS1_iPdS2_S2_iiS2_bS2_.num_named_barrier, 0
	.set _Z6kalmanILi8EEvPKdiS1_S1_S1_S1_S1_bS1_iPdS2_S2_iiS2_bS2_.private_seg_size, 2540
	.set _Z6kalmanILi8EEvPKdiS1_S1_S1_S1_S1_bS1_iPdS2_S2_iiS2_bS2_.uses_vcc, 1
	.set _Z6kalmanILi8EEvPKdiS1_S1_S1_S1_S1_bS1_iPdS2_S2_iiS2_bS2_.uses_flat_scratch, 0
	.set _Z6kalmanILi8EEvPKdiS1_S1_S1_S1_S1_bS1_iPdS2_S2_iiS2_bS2_.has_dyn_sized_stack, 0
	.set _Z6kalmanILi8EEvPKdiS1_S1_S1_S1_S1_bS1_iPdS2_S2_iiS2_bS2_.has_recursion, 0
	.set _Z6kalmanILi8EEvPKdiS1_S1_S1_S1_S1_bS1_iPdS2_S2_iiS2_bS2_.has_indirect_call, 0
	.section	.AMDGPU.csdata,"",@progbits
; Kernel info:
; codeLenInByte = 74032
; TotalNumSgprs: 42
; NumVgprs: 128
; ScratchSize: 2540
; MemoryBound: 0
; FloatMode: 240
; IeeeMode: 1
; LDSByteSize: 0 bytes/workgroup (compile time only)
; SGPRBlocks: 0
; VGPRBlocks: 15
; NumSGPRsForWavesPerEU: 42
; NumVGPRsForWavesPerEU: 128
; Occupancy: 8
; WaveLimiterHint : 0
; COMPUTE_PGM_RSRC2:SCRATCH_EN: 1
; COMPUTE_PGM_RSRC2:USER_SGPR: 6
; COMPUTE_PGM_RSRC2:TRAP_HANDLER: 0
; COMPUTE_PGM_RSRC2:TGID_X_EN: 1
; COMPUTE_PGM_RSRC2:TGID_Y_EN: 0
; COMPUTE_PGM_RSRC2:TGID_Z_EN: 0
; COMPUTE_PGM_RSRC2:TIDIG_COMP_CNT: 0
	.section	.AMDGPU.gpr_maximums,"",@progbits
	.set amdgpu.max_num_vgpr, 0
	.set amdgpu.max_num_agpr, 0
	.set amdgpu.max_num_sgpr, 0
	.section	.AMDGPU.csdata,"",@progbits
	.type	__hip_cuid_21fd537bc2292044,@object ; @__hip_cuid_21fd537bc2292044
	.section	.bss,"aw",@nobits
	.globl	__hip_cuid_21fd537bc2292044
__hip_cuid_21fd537bc2292044:
	.byte	0                               ; 0x0
	.size	__hip_cuid_21fd537bc2292044, 1

	.ident	"AMD clang version 22.0.0git (https://github.com/RadeonOpenCompute/llvm-project roc-7.2.4 26084 f58b06dce1f9c15707c5f808fd002e18c2accf7e)"
	.section	".note.GNU-stack","",@progbits
	.addrsig
	.addrsig_sym __hip_cuid_21fd537bc2292044
	.amdgpu_metadata
---
amdhsa.kernels:
  - .args:
      - .actual_access:  read_only
        .address_space:  global
        .offset:         0
        .size:           8
        .value_kind:     global_buffer
      - .offset:         8
        .size:           4
        .value_kind:     by_value
      - .actual_access:  read_only
        .address_space:  global
        .offset:         16
        .size:           8
        .value_kind:     global_buffer
      - .actual_access:  read_only
        .address_space:  global
        .offset:         24
        .size:           8
        .value_kind:     global_buffer
      - .actual_access:  read_only
        .address_space:  global
        .offset:         32
        .size:           8
        .value_kind:     global_buffer
      - .actual_access:  read_only
        .address_space:  global
        .offset:         40
        .size:           8
        .value_kind:     global_buffer
      - .actual_access:  read_only
        .address_space:  global
        .offset:         48
        .size:           8
        .value_kind:     global_buffer
      - .offset:         56
        .size:           1
        .value_kind:     by_value
      - .actual_access:  read_only
        .address_space:  global
        .offset:         64
        .size:           8
        .value_kind:     global_buffer
      - .offset:         72
        .size:           4
        .value_kind:     by_value
      - .actual_access:  write_only
        .address_space:  global
        .offset:         80
        .size:           8
        .value_kind:     global_buffer
      - .actual_access:  write_only
        .address_space:  global
        .offset:         88
        .size:           8
        .value_kind:     global_buffer
      - .actual_access:  write_only
        .address_space:  global
        .offset:         96
        .size:           8
        .value_kind:     global_buffer
      - .offset:         104
        .size:           4
        .value_kind:     by_value
      - .offset:         108
        .size:           4
        .value_kind:     by_value
      - .actual_access:  write_only
        .address_space:  global
        .offset:         112
        .size:           8
        .value_kind:     global_buffer
      - .offset:         120
        .size:           1
        .value_kind:     by_value
      - .address_space:  global
        .offset:         128
        .size:           8
        .value_kind:     global_buffer
      - .offset:         136
        .size:           4
        .value_kind:     hidden_block_count_x
      - .offset:         140
        .size:           4
        .value_kind:     hidden_block_count_y
      - .offset:         144
        .size:           4
        .value_kind:     hidden_block_count_z
      - .offset:         148
        .size:           2
        .value_kind:     hidden_group_size_x
      - .offset:         150
        .size:           2
        .value_kind:     hidden_group_size_y
      - .offset:         152
        .size:           2
        .value_kind:     hidden_group_size_z
      - .offset:         154
        .size:           2
        .value_kind:     hidden_remainder_x
      - .offset:         156
        .size:           2
        .value_kind:     hidden_remainder_y
      - .offset:         158
        .size:           2
        .value_kind:     hidden_remainder_z
      - .offset:         176
        .size:           8
        .value_kind:     hidden_global_offset_x
      - .offset:         184
        .size:           8
        .value_kind:     hidden_global_offset_y
      - .offset:         192
        .size:           8
        .value_kind:     hidden_global_offset_z
      - .offset:         200
        .size:           2
        .value_kind:     hidden_grid_dims
    .group_segment_fixed_size: 0
    .kernarg_segment_align: 8
    .kernarg_segment_size: 392
    .language:       OpenCL C
    .language_version:
      - 2
      - 0
    .max_flat_workgroup_size: 1024
    .name:           _Z6kalmanILi8EEvPKdiS1_S1_S1_S1_S1_bS1_iPdS2_S2_iiS2_bS2_
    .private_segment_fixed_size: 2540
    .sgpr_count:     42
    .sgpr_spill_count: 0
    .symbol:         _Z6kalmanILi8EEvPKdiS1_S1_S1_S1_S1_bS1_iPdS2_S2_iiS2_bS2_.kd
    .uniform_work_group_size: 1
    .uses_dynamic_stack: false
    .vgpr_count:     128
    .vgpr_spill_count: 1530
    .wavefront_size: 32
    .workgroup_processor_mode: 1
amdhsa.target:   amdgcn-amd-amdhsa--gfx1030
amdhsa.version:
  - 1
  - 2
...

	.end_amdgpu_metadata
